;; amdgpu-corpus repo=ROCm/rocFFT kind=compiled arch=gfx1030 opt=O3
	.text
	.amdgcn_target "amdgcn-amd-amdhsa--gfx1030"
	.amdhsa_code_object_version 6
	.protected	bluestein_single_fwd_len1989_dim1_dp_op_CI_CI ; -- Begin function bluestein_single_fwd_len1989_dim1_dp_op_CI_CI
	.globl	bluestein_single_fwd_len1989_dim1_dp_op_CI_CI
	.p2align	8
	.type	bluestein_single_fwd_len1989_dim1_dp_op_CI_CI,@function
bluestein_single_fwd_len1989_dim1_dp_op_CI_CI: ; @bluestein_single_fwd_len1989_dim1_dp_op_CI_CI
; %bb.0:
	v_mul_u32_u24_e32 v1, 0x1ad, v0
	s_mov_b64 s[62:63], s[2:3]
	s_mov_b64 s[60:61], s[0:1]
	s_load_dwordx4 s[0:3], s[4:5], 0x28
	s_add_u32 s60, s60, s7
	v_lshrrev_b32_e32 v1, 16, v1
	s_addc_u32 s61, s61, 0
	v_mov_b32_e32 v4, 0
	v_add_nc_u32_e32 v3, s6, v1
	v_mov_b32_e32 v2, v3
	buffer_store_dword v2, off, s[60:63], 0 offset:4 ; 4-byte Folded Spill
	buffer_store_dword v3, off, s[60:63], 0 offset:8 ; 4-byte Folded Spill
	s_waitcnt lgkmcnt(0)
	v_cmp_gt_u64_e32 vcc_lo, s[0:1], v[3:4]
	s_and_saveexec_b32 s0, vcc_lo
	s_cbranch_execz .LBB0_23
; %bb.1:
	s_clause 0x1
	s_load_dwordx2 s[12:13], s[4:5], 0x0
	s_load_dwordx2 s[14:15], s[4:5], 0x38
	v_mul_lo_u16 v1, 0x99, v1
	v_sub_nc_u16 v0, v0, v1
	v_and_b32_e32 v1, 0xffff, v0
	v_cmp_gt_u16_e32 vcc_lo, 0x75, v0
	v_lshlrev_b32_e32 v255, 4, v1
	buffer_store_dword v1, off, s[60:63], 0 ; 4-byte Folded Spill
	s_and_saveexec_b32 s1, vcc_lo
	s_cbranch_execz .LBB0_3
; %bb.2:
	s_load_dwordx2 s[6:7], s[4:5], 0x18
	s_waitcnt lgkmcnt(0)
	s_clause 0x1
	global_load_dwordx4 v[0:3], v255, s[12:13]
	global_load_dwordx4 v[4:7], v255, s[12:13] offset:1872
	v_add_co_u32 v8, s0, s12, v255
	v_add_co_ci_u32_e64 v9, null, s13, 0, s0
	v_add_co_u32 v10, s0, 0x800, v8
	v_add_co_ci_u32_e64 v11, s0, 0, v9, s0
	v_add_co_u32 v14, s0, 0x1000, v8
	v_add_co_ci_u32_e64 v15, s0, 0, v9, s0
	;; [unrolled: 2-line block ×3, first 2 shown]
	v_add_co_u32 v22, s0, 0x2000, v8
	s_load_dwordx4 s[8:11], s[6:7], 0x0
	s_clause 0x2
	buffer_load_dword v12, off, s[60:63], 0 offset:4
	buffer_load_dword v13, off, s[60:63], 0 offset:8
	buffer_load_dword v20, off, s[60:63], 0
	v_add_co_ci_u32_e64 v23, s0, 0, v9, s0
	v_add_co_u32 v26, s0, 0x2800, v8
	v_add_co_ci_u32_e64 v27, s0, 0, v9, s0
	v_add_co_u32 v32, s0, 0x3000, v8
	;; [unrolled: 2-line block ×5, first 2 shown]
	v_add_co_ci_u32_e64 v43, s0, 0, v9, s0
	s_waitcnt lgkmcnt(0)
	s_mul_i32 s6, s9, 0x750
	s_mul_hi_u32 s7, s8, 0x750
	s_waitcnt vmcnt(2)
	v_mov_b32_e32 v16, v12
	s_waitcnt vmcnt(0)
	v_mad_u64_u32 v[30:31], null, s8, v20, 0
	v_mad_u64_u32 v[28:29], null, s10, v16, 0
	v_mov_b32_e32 v13, v31
	v_mov_b32_e32 v12, v29
	v_mad_u64_u32 v[36:37], null, s9, v20, v[13:14]
	v_mad_u64_u32 v[16:17], null, s11, v16, v[12:13]
	global_load_dwordx4 v[10:13], v[10:11], off offset:1696
	v_mov_b32_e32 v31, v36
	v_mov_b32_e32 v29, v16
	v_lshlrev_b64 v[30:31], 4, v[30:31]
	s_clause 0x4
	global_load_dwordx4 v[14:17], v[14:15], off offset:1520
	global_load_dwordx4 v[18:21], v[18:19], off offset:1344
	;; [unrolled: 1-line block ×5, first 2 shown]
	v_lshlrev_b64 v[36:37], 4, v[28:29]
	global_load_dwordx4 v[26:29], v[26:27], off offset:992
	v_add_co_u32 v36, s0, s2, v36
	v_add_co_ci_u32_e64 v37, s0, s3, v37, s0
	s_mul_i32 s2, s8, 0x750
	v_add_co_u32 v46, s0, v36, v30
	v_add_co_ci_u32_e64 v47, s0, v37, v31, s0
	global_load_dwordx4 v[30:33], v[32:33], off offset:816
	s_add_i32 s3, s7, s6
	v_add_co_u32 v50, s0, v46, s2
	v_add_co_ci_u32_e64 v51, s0, s3, v47, s0
	global_load_dwordx4 v[34:37], v[34:35], off offset:640
	v_add_co_u32 v54, s0, v50, s2
	v_add_co_ci_u32_e64 v55, s0, s3, v51, s0
	s_clause 0x1
	global_load_dwordx4 v[46:49], v[46:47], off
	global_load_dwordx4 v[50:53], v[50:51], off
	v_add_co_u32 v58, s0, v54, s2
	v_add_co_ci_u32_e64 v59, s0, s3, v55, s0
	global_load_dwordx4 v[54:57], v[54:55], off
	v_add_co_u32 v62, s0, v58, s2
	v_add_co_ci_u32_e64 v63, s0, s3, v59, s0
	;; [unrolled: 3-line block ×6, first 2 shown]
	v_add_co_u32 v82, s0, v78, s2
	v_add_co_ci_u32_e64 v83, s0, s3, v79, s0
	v_add_co_u32 v86, s0, v82, s2
	v_add_co_ci_u32_e64 v87, s0, s3, v83, s0
	;; [unrolled: 2-line block ×3, first 2 shown]
	global_load_dwordx4 v[74:77], v[74:75], off
	global_load_dwordx4 v[78:81], v[78:79], off
	;; [unrolled: 1-line block ×5, first 2 shown]
	v_add_co_u32 v98, s0, v94, s2
	v_add_co_ci_u32_e64 v99, s0, s3, v95, s0
	v_add_co_u32 v102, s0, 0x5000, v8
	v_add_co_ci_u32_e64 v103, s0, 0, v9, s0
	;; [unrolled: 2-line block ×8, first 2 shown]
	v_add_co_u32 v8, s0, 0x7000, v8
	global_load_dwordx4 v[94:97], v[98:99], off
	v_add_co_ci_u32_e64 v9, s0, 0, v9, s0
	v_add_co_u32 v134, s0, v122, s2
	s_clause 0x1
	global_load_dwordx4 v[98:101], v[102:103], off offset:112
	global_load_dwordx4 v[102:105], v[102:103], off offset:1984
	global_load_dwordx4 v[106:109], v[106:107], off
	global_load_dwordx4 v[110:113], v[110:111], off offset:1808
	global_load_dwordx4 v[114:117], v[118:119], off
	v_add_co_ci_u32_e64 v135, s0, s3, v123, s0
	global_load_dwordx4 v[118:121], v[120:121], off offset:1632
	global_load_dwordx4 v[122:125], v[122:123], off
	s_clause 0x1
	global_load_dwordx4 v[126:129], v[126:127], off offset:1456
	global_load_dwordx4 v[130:133], v[8:9], off offset:1280
	global_load_dwordx4 v[134:137], v[134:135], off
	s_waitcnt vmcnt(22)
	v_mul_f64 v[8:9], v[48:49], v[2:3]
	v_mul_f64 v[2:3], v[46:47], v[2:3]
	s_waitcnt vmcnt(21)
	v_mul_f64 v[138:139], v[52:53], v[6:7]
	v_mul_f64 v[140:141], v[50:51], v[6:7]
	;; [unrolled: 3-line block ×6, first 2 shown]
	v_fma_f64 v[6:7], v[46:47], v[0:1], v[8:9]
	v_fma_f64 v[8:9], v[48:49], v[0:1], -v[2:3]
	v_fma_f64 v[0:1], v[50:51], v[4:5], v[138:139]
	v_fma_f64 v[2:3], v[52:53], v[4:5], -v[140:141]
	s_waitcnt vmcnt(16)
	v_mul_f64 v[4:5], v[72:73], v[28:29]
	v_mul_f64 v[28:29], v[70:71], v[28:29]
	v_fma_f64 v[46:47], v[54:55], v[10:11], v[142:143]
	v_fma_f64 v[48:49], v[56:57], v[10:11], -v[12:13]
	v_fma_f64 v[10:11], v[58:59], v[14:15], v[144:145]
	v_fma_f64 v[12:13], v[60:61], v[14:15], -v[16:17]
	;; [unrolled: 2-line block ×3, first 2 shown]
	s_waitcnt vmcnt(15)
	v_mul_f64 v[50:51], v[76:77], v[32:33]
	v_mul_f64 v[32:33], v[74:75], v[32:33]
	s_waitcnt vmcnt(14)
	v_mul_f64 v[52:53], v[80:81], v[36:37]
	v_mul_f64 v[36:37], v[78:79], v[36:37]
	;; [unrolled: 3-line block ×4, first 2 shown]
	v_fma_f64 v[18:19], v[66:67], v[22:23], v[148:149]
	v_fma_f64 v[20:21], v[68:69], v[22:23], -v[24:25]
	v_fma_f64 v[22:23], v[70:71], v[26:27], v[4:5]
	v_fma_f64 v[24:25], v[72:73], v[26:27], -v[28:29]
	;; [unrolled: 2-line block ×6, first 2 shown]
	s_waitcnt vmcnt(9)
	v_mul_f64 v[58:59], v[92:93], v[100:101]
	v_mul_f64 v[60:61], v[90:91], v[100:101]
	s_waitcnt vmcnt(8)
	v_mul_f64 v[62:63], v[96:97], v[104:105]
	v_mul_f64 v[64:65], v[94:95], v[104:105]
	;; [unrolled: 3-line block ×6, first 2 shown]
	v_fma_f64 v[42:43], v[90:91], v[98:99], v[58:59]
	v_fma_f64 v[44:45], v[92:93], v[98:99], -v[60:61]
	v_fma_f64 v[50:51], v[94:95], v[102:103], v[62:63]
	v_fma_f64 v[52:53], v[96:97], v[102:103], -v[64:65]
	;; [unrolled: 2-line block ×6, first 2 shown]
	ds_write_b128 v255, v[6:9]
	ds_write_b128 v255, v[0:3] offset:1872
	ds_write_b128 v255, v[46:49] offset:3744
	;; [unrolled: 1-line block ×16, first 2 shown]
.LBB0_3:
	s_or_b32 exec_lo, exec_lo, s1
	s_clause 0x1
	s_load_dwordx2 s[0:1], s[4:5], 0x20
	s_load_dwordx2 s[2:3], s[4:5], 0x8
	s_waitcnt lgkmcnt(0)
	s_waitcnt_vscnt null, 0x0
	s_barrier
	buffer_gl0_inv
                                        ; implicit-def: $vgpr0_vgpr1
                                        ; implicit-def: $vgpr32_vgpr33
                                        ; implicit-def: $vgpr40_vgpr41
                                        ; implicit-def: $vgpr44_vgpr45
                                        ; implicit-def: $vgpr48_vgpr49
                                        ; implicit-def: $vgpr56_vgpr57
                                        ; implicit-def: $vgpr60_vgpr61
                                        ; implicit-def: $vgpr64_vgpr65
                                        ; implicit-def: $vgpr68_vgpr69
                                        ; implicit-def: $vgpr72_vgpr73
                                        ; implicit-def: $vgpr52_vgpr53
                                        ; implicit-def: $vgpr36_vgpr37
                                        ; implicit-def: $vgpr28_vgpr29
                                        ; implicit-def: $vgpr20_vgpr21
                                        ; implicit-def: $vgpr16_vgpr17
                                        ; implicit-def: $vgpr12_vgpr13
                                        ; implicit-def: $vgpr4_vgpr5
	s_and_saveexec_b32 s4, vcc_lo
	s_cbranch_execz .LBB0_5
; %bb.4:
	ds_read_b128 v[0:3], v255
	ds_read_b128 v[32:35], v255 offset:1872
	ds_read_b128 v[40:43], v255 offset:3744
	;; [unrolled: 1-line block ×16, first 2 shown]
.LBB0_5:
	s_or_b32 exec_lo, exec_lo, s4
	s_waitcnt lgkmcnt(1)
	v_add_f64 v[78:79], v[40:41], -v[12:13]
	s_mov_b32 s10, 0x2a9d6da3
	s_mov_b32 s11, 0xbfe58eea
	v_add_f64 v[84:85], v[46:47], -v[18:19]
	v_add_f64 v[86:87], v[44:45], -v[16:17]
	s_mov_b32 s6, 0x7c9e640b
	s_mov_b32 s7, 0xbfeca52d
	v_add_f64 v[94:95], v[50:51], -v[22:23]
	v_add_f64 v[92:93], v[48:49], -v[20:21]
	s_mov_b32 s20, 0xeb564b22
	s_mov_b32 s21, 0xbfefdd0d
	s_waitcnt lgkmcnt(0)
	v_add_f64 v[146:147], v[34:35], -v[6:7]
	v_add_f64 v[198:199], v[32:33], -v[4:5]
	s_mov_b32 s4, 0x5d8e7cdc
	s_mov_b32 s5, 0xbfd71e95
	v_add_f64 v[142:143], v[32:33], v[4:5]
	v_add_f64 v[82:83], v[42:43], -v[14:15]
	v_add_f64 v[196:197], v[34:35], v[6:7]
	s_mov_b32 s8, 0x370991
	s_mov_b32 s9, 0x3fedd6d0
	v_add_f64 v[76:77], v[40:41], v[12:13]
	v_add_f64 v[90:91], v[42:43], v[14:15]
	v_mul_f64 v[26:27], v[78:79], s[10:11]
	s_mov_b32 s16, 0x75d4884
	s_mov_b32 s17, 0x3fe7a5f6
	v_mul_f64 v[96:97], v[84:85], s[6:7]
	v_mul_f64 v[100:101], v[86:87], s[6:7]
	v_add_f64 v[102:103], v[46:47], v[18:19]
	s_mov_b32 s18, 0x2b2883cd
	v_mul_f64 v[98:99], v[94:95], s[20:21]
	v_mul_f64 v[104:105], v[92:93], s[20:21]
	s_mov_b32 s19, 0x3fdc86fa
	v_add_f64 v[122:123], v[50:51], v[22:23]
	v_mul_f64 v[194:195], v[146:147], s[4:5]
	v_mul_f64 v[201:202], v[198:199], s[4:5]
	s_mov_b32 s22, 0x3259b75e
	s_mov_b32 s23, 0x3fb79ee6
	v_add_f64 v[120:121], v[58:59], -v[30:31]
	v_mul_f64 v[168:169], v[82:83], s[10:11]
	s_mov_b32 s28, 0x923c349f
	s_mov_b32 s29, 0x3feec746
	;; [unrolled: 1-line block ×4, first 2 shown]
	v_add_f64 v[80:81], v[44:45], v[16:17]
	buffer_store_dword v26, off, s[60:63], 0 offset:28 ; 4-byte Folded Spill
	buffer_store_dword v27, off, s[60:63], 0 offset:32 ; 4-byte Folded Spill
	;; [unrolled: 1-line block ×10, first 2 shown]
	v_add_f64 v[88:89], v[48:49], v[20:21]
	v_add_f64 v[110:111], v[56:57], -v[28:29]
	v_fma_f64 v[8:9], v[142:143], s[8:9], v[194:195]
	v_fma_f64 v[10:11], v[196:197], s[8:9], -v[201:202]
	s_mov_b32 s24, 0xc61f0d01
	s_mov_b32 s25, 0xbfd183b1
	v_add_f64 v[138:139], v[58:59], v[30:31]
	v_fma_f64 v[24:25], v[76:77], s[16:17], v[168:169]
	v_add_f64 v[112:113], v[62:63], -v[38:39]
	s_mov_b32 s34, 0x6c9a05f6
	s_mov_b32 s35, 0xbfe9895b
	v_add_f64 v[106:107], v[60:61], v[36:37]
	v_add_f64 v[124:125], v[60:61], -v[36:37]
	s_mov_b32 s30, 0x6ed5f1bb
	s_mov_b32 s31, 0xbfe348c8
	v_add_f64 v[132:133], v[62:63], v[38:39]
	v_add_f64 v[130:131], v[66:67], -v[54:55]
	s_mov_b32 s46, 0x4363dd80
	s_mov_b32 s47, 0x3fe0d888
	;; [unrolled: 1-line block ×4, first 2 shown]
	v_add_f64 v[108:109], v[64:65], v[52:53]
	v_add_f64 v[128:129], v[64:65], -v[52:53]
	v_mul_f64 v[205:206], v[110:111], s[26:27]
	v_add_f64 v[8:9], v[0:1], v[8:9]
	v_add_f64 v[10:11], v[2:3], v[10:11]
	s_mov_b32 s40, 0x910ea3b9
	s_mov_b32 s41, 0xbfeb34fa
	v_add_f64 v[136:137], v[66:67], v[54:55]
	v_add_f64 v[126:127], v[70:71], -v[74:75]
	v_mul_f64 v[203:204], v[112:113], s[34:35]
	s_mov_b32 s38, 0xacd6c6b4
	s_mov_b32 s39, 0xbfc7851a
	v_add_f64 v[114:115], v[68:69], -v[72:73]
	v_mul_f64 v[209:210], v[124:125], s[34:35]
	s_mov_b32 s36, 0x7faef3
	s_mov_b32 s37, 0xbfef7484
	v_add_f64 v[134:135], v[70:71], v[74:75]
	v_mul_f64 v[207:208], v[130:131], s[42:43]
	v_mul_f64 v[154:155], v[146:147], s[10:11]
	;; [unrolled: 1-line block ×8, first 2 shown]
	v_add_f64 v[8:9], v[24:25], v[8:9]
	v_mul_f64 v[223:224], v[94:95], s[38:39]
	v_mul_f64 v[237:238], v[92:93], s[38:39]
	;; [unrolled: 1-line block ×7, first 2 shown]
	s_mov_b32 s45, 0x3feca52d
	v_mul_f64 v[217:218], v[114:115], s[38:39]
	s_mov_b32 s44, s6
	s_mov_b32 s49, 0x3fd71e95
	v_mul_f64 v[231:232], v[130:131], s[44:45]
	v_mul_f64 v[247:248], v[128:129], s[44:45]
	s_mov_b32 s48, s4
	v_mul_f64 v[158:159], v[146:147], s[6:7]
	v_mul_f64 v[233:234], v[126:127], s[48:49]
	;; [unrolled: 1-line block ×6, first 2 shown]
	s_mov_b32 s51, 0x3fc7851a
	s_mov_b32 s50, s38
	v_mul_f64 v[243:244], v[94:95], s[28:29]
	v_mul_f64 v[241:242], v[84:85], s[50:51]
	;; [unrolled: 1-line block ×4, first 2 shown]
	s_mov_b32 s53, 0x3fe58eea
	s_mov_b32 s52, s10
	v_mul_f64 v[140:141], v[112:113], s[4:5]
	v_mul_f64 v[253:254], v[120:121], s[52:53]
	;; [unrolled: 1-line block ×13, first 2 shown]
	s_mov_b32 s55, 0x3fe9895b
	s_mov_b32 s54, s34
	v_mul_f64 v[186:187], v[128:129], s[54:55]
	v_fma_f64 v[170:171], v[90:91], s[36:37], -v[180:181]
	v_fma_f64 v[26:27], v[90:91], s[16:17], -v[26:27]
	v_fma_f64 v[96:97], v[80:81], s[18:19], v[96:97]
	v_fma_f64 v[24:25], v[102:103], s[18:19], -v[100:101]
	v_add_f64 v[100:101], v[56:57], v[28:29]
	v_add_f64 v[10:11], v[26:27], v[10:11]
	v_fma_f64 v[26:27], v[88:89], s[22:23], v[98:99]
	v_add_f64 v[8:9], v[96:97], v[8:9]
	v_add_f64 v[10:11], v[24:25], v[10:11]
	v_fma_f64 v[24:25], v[122:123], s[22:23], -v[104:105]
	v_add_f64 v[104:105], v[68:69], v[72:73]
	v_add_f64 v[8:9], v[26:27], v[8:9]
	;; [unrolled: 1-line block ×3, first 2 shown]
	v_mul_f64 v[24:25], v[120:121], s[26:27]
	buffer_store_dword v24, off, s[60:63], 0 offset:164 ; 4-byte Folded Spill
	buffer_store_dword v25, off, s[60:63], 0 offset:168 ; 4-byte Folded Spill
	v_fma_f64 v[24:25], v[100:101], s[24:25], v[24:25]
	v_add_f64 v[8:9], v[24:25], v[8:9]
	v_fma_f64 v[24:25], v[138:139], s[24:25], -v[205:206]
	v_add_f64 v[10:11], v[24:25], v[10:11]
	v_fma_f64 v[24:25], v[106:107], s[30:31], v[203:204]
	v_add_f64 v[8:9], v[24:25], v[8:9]
	v_fma_f64 v[24:25], v[132:133], s[30:31], -v[209:210]
	v_add_f64 v[10:11], v[24:25], v[10:11]
	;; [unrolled: 4-line block ×3, first 2 shown]
	v_fma_f64 v[24:25], v[104:105], s[36:37], v[211:212]
	v_add_f64 v[96:97], v[24:25], v[8:9]
	v_fma_f64 v[8:9], v[134:135], s[36:37], -v[217:218]
	v_fma_f64 v[24:25], v[90:91], s[22:23], -v[221:222]
	v_add_f64 v[98:99], v[8:9], v[10:11]
	v_fma_f64 v[8:9], v[142:143], s[16:17], v[154:155]
	v_fma_f64 v[10:11], v[76:77], s[22:23], v[215:216]
	v_add_f64 v[8:9], v[0:1], v[8:9]
	v_add_f64 v[8:9], v[10:11], v[8:9]
	v_fma_f64 v[10:11], v[196:197], s[16:17], -v[156:157]
	v_add_f64 v[10:11], v[2:3], v[10:11]
	v_add_f64 v[10:11], v[24:25], v[10:11]
	v_fma_f64 v[24:25], v[80:81], s[30:31], v[219:220]
	v_add_f64 v[8:9], v[24:25], v[8:9]
	v_fma_f64 v[24:25], v[102:103], s[30:31], -v[225:226]
	v_add_f64 v[10:11], v[24:25], v[10:11]
	v_fma_f64 v[24:25], v[88:89], s[36:37], v[223:224]
	v_add_f64 v[8:9], v[24:25], v[8:9]
	v_fma_f64 v[24:25], v[122:123], s[36:37], -v[237:238]
	;; [unrolled: 4-line block ×6, first 2 shown]
	v_fma_f64 v[24:25], v[90:91], s[30:31], -v[251:252]
	v_add_f64 v[118:119], v[8:9], v[10:11]
	v_fma_f64 v[8:9], v[142:143], s[18:19], v[158:159]
	v_fma_f64 v[10:11], v[76:77], s[30:31], v[235:236]
	v_add_f64 v[8:9], v[0:1], v[8:9]
	v_add_f64 v[8:9], v[10:11], v[8:9]
	v_fma_f64 v[10:11], v[196:197], s[18:19], -v[160:161]
	v_add_f64 v[10:11], v[2:3], v[10:11]
	v_add_f64 v[10:11], v[24:25], v[10:11]
	v_fma_f64 v[24:25], v[80:81], s[36:37], v[241:242]
	v_add_f64 v[8:9], v[24:25], v[8:9]
	v_fma_f64 v[24:25], v[102:103], s[36:37], -v[144:145]
	v_add_f64 v[10:11], v[24:25], v[10:11]
	v_fma_f64 v[24:25], v[88:89], s[24:25], v[243:244]
	v_add_f64 v[8:9], v[24:25], v[8:9]
	v_fma_f64 v[24:25], v[122:123], s[24:25], -v[148:149]
	;; [unrolled: 4-line block ×4, first 2 shown]
	v_add_f64 v[10:11], v[24:25], v[10:11]
	v_mul_f64 v[24:25], v[130:131], s[20:21]
	buffer_store_dword v24, off, s[60:63], 0 offset:108 ; 4-byte Folded Spill
	buffer_store_dword v25, off, s[60:63], 0 offset:112 ; 4-byte Folded Spill
	v_fma_f64 v[24:25], v[108:109], s[22:23], v[24:25]
	v_add_f64 v[8:9], v[24:25], v[8:9]
	v_mul_f64 v[24:25], v[128:129], s[20:21]
	buffer_store_dword v24, off, s[60:63], 0 offset:172 ; 4-byte Folded Spill
	buffer_store_dword v25, off, s[60:63], 0 offset:176 ; 4-byte Folded Spill
	v_fma_f64 v[24:25], v[136:137], s[22:23], -v[24:25]
	v_add_f64 v[10:11], v[24:25], v[10:11]
	v_mul_f64 v[24:25], v[126:127], s[42:43]
	buffer_store_dword v24, off, s[60:63], 0 offset:124 ; 4-byte Folded Spill
	buffer_store_dword v25, off, s[60:63], 0 offset:128 ; 4-byte Folded Spill
	v_fma_f64 v[24:25], v[104:105], s[40:41], v[24:25]
	v_add_f64 v[24:25], v[24:25], v[8:9]
	v_fma_f64 v[8:9], v[134:135], s[40:41], -v[174:175]
	v_add_f64 v[26:27], v[8:9], v[10:11]
	v_mul_f64 v[10:11], v[82:83], s[38:39]
	buffer_store_dword v10, off, s[60:63], 0 offset:92 ; 4-byte Folded Spill
	buffer_store_dword v11, off, s[60:63], 0 offset:96 ; 4-byte Folded Spill
	buffer_store_dword v166, off, s[60:63], 0 offset:140 ; 4-byte Folded Spill
	buffer_store_dword v167, off, s[60:63], 0 offset:144 ; 4-byte Folded Spill
	v_fma_f64 v[8:9], v[142:143], s[22:23], v[162:163]
	v_add_f64 v[8:9], v[0:1], v[8:9]
	v_fma_f64 v[10:11], v[76:77], s[36:37], v[10:11]
	v_add_f64 v[8:9], v[10:11], v[8:9]
	v_fma_f64 v[10:11], v[196:197], s[22:23], -v[164:165]
	v_add_f64 v[10:11], v[2:3], v[10:11]
	v_add_f64 v[10:11], v[170:171], v[10:11]
	v_fma_f64 v[170:171], v[80:81], s[24:25], v[166:167]
	v_mul_f64 v[166:167], v[94:95], s[48:49]
	buffer_store_dword v166, off, s[60:63], 0 offset:156 ; 4-byte Folded Spill
	buffer_store_dword v167, off, s[60:63], 0 offset:160 ; 4-byte Folded Spill
	v_add_f64 v[8:9], v[170:171], v[8:9]
	v_fma_f64 v[170:171], v[102:103], s[24:25], -v[184:185]
	s_waitcnt_vscnt null, 0x0
	s_barrier
	buffer_gl0_inv
	v_add_f64 v[10:11], v[170:171], v[10:11]
	v_fma_f64 v[170:171], v[88:89], s[8:9], v[166:167]
	v_add_f64 v[8:9], v[170:171], v[8:9]
	v_fma_f64 v[170:171], v[122:123], s[8:9], -v[188:189]
	v_add_f64 v[10:11], v[170:171], v[10:11]
	v_mul_f64 v[170:171], v[120:121], s[6:7]
	v_fma_f64 v[172:173], v[100:101], s[18:19], v[170:171]
	v_add_f64 v[8:9], v[172:173], v[8:9]
	v_fma_f64 v[172:173], v[138:139], s[18:19], -v[190:191]
	v_add_f64 v[10:11], v[172:173], v[10:11]
	v_mul_f64 v[172:173], v[112:113], s[42:43]
	;; [unrolled: 5-line block ×4, first 2 shown]
	v_fma_f64 v[192:193], v[104:105], s[16:17], v[178:179]
	v_add_f64 v[8:9], v[192:193], v[8:9]
	v_mul_f64 v[192:193], v[114:115], s[52:53]
	v_fma_f64 v[166:167], v[134:135], s[16:17], -v[192:193]
	v_add_f64 v[10:11], v[166:167], v[10:11]
	s_and_saveexec_b32 s33, vcc_lo
	s_cbranch_execz .LBB0_7
; %bb.6:
	v_add_f64 v[32:33], v[0:1], v[32:33]
	v_add_f64 v[34:35], v[2:3], v[34:35]
	s_mov_b32 s57, 0x3fefdd0d
	s_mov_b32 s56, s20
	v_mul_f64 v[166:167], v[102:103], s[18:19]
	v_add_f64 v[32:33], v[32:33], v[40:41]
	v_add_f64 v[34:35], v[34:35], v[42:43]
	;; [unrolled: 1-line block ×6, first 2 shown]
	v_mul_f64 v[50:51], v[146:147], s[34:35]
	v_mul_f64 v[48:49], v[146:147], s[42:43]
	v_add_f64 v[32:33], v[32:33], v[56:57]
	v_add_f64 v[34:35], v[34:35], v[58:59]
	v_fma_f64 v[58:59], v[142:143], s[30:31], v[50:51]
	v_fma_f64 v[56:57], v[142:143], s[40:41], v[48:49]
	v_fma_f64 v[48:49], v[142:143], s[40:41], -v[48:49]
	v_fma_f64 v[50:51], v[142:143], s[30:31], -v[50:51]
	v_add_f64 v[32:33], v[32:33], v[60:61]
	v_add_f64 v[34:35], v[34:35], v[62:63]
	v_mul_f64 v[62:63], v[142:143], s[8:9]
	v_add_f64 v[56:57], v[0:1], v[56:57]
	v_add_f64 v[48:49], v[0:1], v[48:49]
	;; [unrolled: 1-line block ×5, first 2 shown]
	v_add_f64 v[62:63], v[62:63], -v[194:195]
	v_mul_f64 v[194:195], v[80:81], s[18:19]
	v_add_f64 v[32:33], v[32:33], v[68:69]
	v_add_f64 v[34:35], v[34:35], v[70:71]
	;; [unrolled: 1-line block ×4, first 2 shown]
	v_mul_f64 v[72:73], v[122:123], s[16:17]
	v_mul_f64 v[74:75], v[94:95], s[52:53]
	v_add_f64 v[32:33], v[32:33], v[52:53]
	v_add_f64 v[34:35], v[34:35], v[54:55]
	v_mul_f64 v[52:53], v[146:147], s[26:27]
	v_add_f64 v[32:33], v[32:33], v[36:37]
	v_add_f64 v[34:35], v[34:35], v[38:39]
	v_fma_f64 v[60:61], v[142:143], s[24:25], v[52:53]
	v_fma_f64 v[52:53], v[142:143], s[24:25], -v[52:53]
	v_add_f64 v[28:29], v[32:33], v[28:29]
	v_add_f64 v[30:31], v[34:35], v[30:31]
	;; [unrolled: 1-line block ×5, first 2 shown]
	v_mul_f64 v[20:21], v[196:197], s[30:31]
	v_add_f64 v[18:19], v[22:23], v[18:19]
	v_add_f64 v[12:13], v[16:17], v[12:13]
	v_fma_f64 v[22:23], v[198:199], s[54:55], v[20:21]
	v_fma_f64 v[28:29], v[198:199], s[34:35], v[20:21]
	v_mul_f64 v[20:21], v[196:197], s[24:25]
	v_add_f64 v[14:15], v[18:19], v[14:15]
	v_mul_f64 v[16:17], v[196:197], s[40:41]
	v_add_f64 v[4:5], v[12:13], v[4:5]
	;; [unrolled: 2-line block ×3, first 2 shown]
	v_fma_f64 v[30:31], v[198:199], s[28:29], v[20:21]
	v_fma_f64 v[32:33], v[198:199], s[26:27], v[20:21]
	v_mul_f64 v[20:21], v[196:197], s[22:23]
	v_add_f64 v[6:7], v[14:15], v[6:7]
	v_fma_f64 v[18:19], v[198:199], s[46:47], v[16:17]
	v_fma_f64 v[16:17], v[198:199], s[42:43], v[16:17]
	v_add_f64 v[28:29], v[2:3], v[28:29]
	v_fma_f64 v[14:15], v[198:199], s[50:51], v[12:13]
	v_fma_f64 v[12:13], v[198:199], s[38:39], v[12:13]
	v_mul_f64 v[198:199], v[88:89], s[22:23]
	v_add_f64 v[34:35], v[164:165], v[20:21]
	v_mul_f64 v[20:21], v[142:143], s[22:23]
	v_add_f64 v[68:69], v[2:3], v[18:19]
	v_add_f64 v[70:71], v[2:3], v[16:17]
	;; [unrolled: 1-line block ×6, first 2 shown]
	s_clause 0x1
	buffer_load_dword v164, off, s[60:63], 0 offset:28
	buffer_load_dword v165, off, s[60:63], 0 offset:32
	v_mul_f64 v[62:63], v[84:85], s[42:43]
	v_mul_f64 v[18:19], v[126:127], s[56:57]
	v_add_f64 v[14:15], v[2:3], v[14:15]
	v_add_f64 v[64:65], v[2:3], v[12:13]
	;; [unrolled: 1-line block ×3, first 2 shown]
	v_mul_f64 v[60:61], v[82:83], s[48:49]
	v_add_f64 v[34:35], v[2:3], v[34:35]
	v_add_f64 v[36:37], v[20:21], -v[162:163]
	v_mul_f64 v[20:21], v[196:197], s[18:19]
	v_add_f64 v[36:37], v[0:1], v[36:37]
	v_add_f64 v[38:39], v[160:161], v[20:21]
	v_mul_f64 v[20:21], v[142:143], s[18:19]
	v_mul_f64 v[160:161], v[130:131], s[26:27]
	v_add_f64 v[38:39], v[2:3], v[38:39]
	v_add_f64 v[40:41], v[20:21], -v[158:159]
	v_mul_f64 v[20:21], v[196:197], s[16:17]
	v_mul_f64 v[158:159], v[136:137], s[24:25]
	v_add_f64 v[40:41], v[0:1], v[40:41]
	v_add_f64 v[42:43], v[156:157], v[20:21]
	v_mul_f64 v[20:21], v[142:143], s[16:17]
	v_mul_f64 v[156:157], v[112:113], s[44:45]
	v_add_f64 v[42:43], v[2:3], v[42:43]
	v_add_f64 v[44:45], v[20:21], -v[154:155]
	v_mul_f64 v[20:21], v[196:197], s[8:9]
	v_mul_f64 v[154:155], v[132:133], s[18:19]
	;; [unrolled: 1-line block ×3, first 2 shown]
	v_add_f64 v[44:45], v[0:1], v[44:45]
	v_add_f64 v[46:47], v[201:202], v[20:21]
	v_mul_f64 v[20:21], v[146:147], s[38:39]
	v_mul_f64 v[146:147], v[120:121], s[34:35]
	;; [unrolled: 1-line block ×3, first 2 shown]
	v_add_f64 v[46:47], v[2:3], v[46:47]
	v_fma_f64 v[54:55], v[142:143], s[36:37], v[20:21]
	v_fma_f64 v[20:21], v[142:143], s[36:37], -v[20:21]
	v_fma_f64 v[2:3], v[76:77], s[8:9], v[60:61]
	v_mul_f64 v[142:143], v[138:139], s[30:31]
	v_add_f64 v[200:201], v[205:206], v[200:201]
	v_mul_f64 v[205:206], v[100:101], s[24:25]
	v_fma_f64 v[60:61], v[76:77], s[8:9], -v[60:61]
	v_add_f64 v[54:55], v[0:1], v[54:55]
	v_add_f64 v[66:67], v[0:1], v[20:21]
	;; [unrolled: 1-line block ×3, first 2 shown]
	v_mul_f64 v[58:59], v[90:91], s[8:9]
	v_add_f64 v[2:3], v[2:3], v[54:55]
	v_mul_f64 v[54:55], v[102:103], s[40:41]
	v_add_f64 v[60:61], v[60:61], v[66:67]
	v_fma_f64 v[0:1], v[78:79], s[4:5], v[58:59]
	v_fma_f64 v[58:59], v[78:79], s[48:49], v[58:59]
	v_add_f64 v[0:1], v[0:1], v[14:15]
	v_fma_f64 v[14:15], v[86:87], s[46:47], v[54:55]
	v_add_f64 v[58:59], v[58:59], v[64:65]
	v_fma_f64 v[54:55], v[86:87], s[42:43], v[54:55]
	v_mul_f64 v[64:65], v[90:91], s[18:19]
	v_add_f64 v[0:1], v[14:15], v[0:1]
	v_fma_f64 v[14:15], v[80:81], s[40:41], v[62:63]
	v_add_f64 v[54:55], v[54:55], v[58:59]
	v_fma_f64 v[58:59], v[80:81], s[40:41], -v[62:63]
	v_fma_f64 v[66:67], v[78:79], s[6:7], v[64:65]
	v_fma_f64 v[64:65], v[78:79], s[44:45], v[64:65]
	v_add_f64 v[2:3], v[14:15], v[2:3]
	v_fma_f64 v[14:15], v[92:93], s[10:11], v[72:73]
	v_add_f64 v[58:59], v[58:59], v[60:61]
	v_mul_f64 v[60:61], v[102:103], s[22:23]
	v_add_f64 v[66:67], v[66:67], v[68:69]
	v_mul_f64 v[68:69], v[82:83], s[44:45]
	v_add_f64 v[64:65], v[64:65], v[70:71]
	v_add_f64 v[0:1], v[14:15], v[0:1]
	v_fma_f64 v[14:15], v[88:89], s[16:17], v[74:75]
	v_fma_f64 v[62:63], v[86:87], s[56:57], v[60:61]
	;; [unrolled: 1-line block ×3, first 2 shown]
	v_add_f64 v[2:3], v[14:15], v[2:3]
	v_fma_f64 v[14:15], v[110:111], s[54:55], v[142:143]
	v_add_f64 v[62:63], v[62:63], v[66:67]
	v_mul_f64 v[66:67], v[84:85], s[20:21]
	v_add_f64 v[60:61], v[60:61], v[64:65]
	v_add_f64 v[0:1], v[14:15], v[0:1]
	v_fma_f64 v[14:15], v[100:101], s[30:31], v[146:147]
	v_fma_f64 v[64:65], v[80:81], s[22:23], -v[66:67]
	v_add_f64 v[2:3], v[14:15], v[2:3]
	v_fma_f64 v[14:15], v[124:125], s[6:7], v[154:155]
	v_add_f64 v[0:1], v[14:15], v[0:1]
	v_fma_f64 v[14:15], v[106:107], s[18:19], v[156:157]
	;; [unrolled: 2-line block ×4, first 2 shown]
	v_add_f64 v[162:163], v[14:15], v[2:3]
	v_mul_f64 v[14:15], v[134:135], s[22:23]
	v_fma_f64 v[2:3], v[114:115], s[20:21], v[14:15]
	v_fma_f64 v[14:15], v[114:115], s[56:57], v[14:15]
	v_add_f64 v[2:3], v[2:3], v[0:1]
	v_fma_f64 v[0:1], v[104:105], s[22:23], v[18:19]
	v_fma_f64 v[18:19], v[104:105], s[22:23], -v[18:19]
	v_add_f64 v[0:1], v[0:1], v[162:163]
	v_mul_f64 v[162:163], v[90:91], s[16:17]
	s_waitcnt vmcnt(0)
	v_add_f64 v[162:163], v[164:165], v[162:163]
	v_mul_f64 v[164:165], v[76:77], s[16:17]
	v_add_f64 v[46:47], v[162:163], v[46:47]
	v_add_f64 v[164:165], v[164:165], -v[168:169]
	s_clause 0x1
	buffer_load_dword v168, off, s[60:63], 0 offset:60
	buffer_load_dword v169, off, s[60:63], 0 offset:64
	v_add_f64 v[52:53], v[164:165], v[52:53]
	s_waitcnt vmcnt(0)
	v_add_f64 v[166:167], v[168:169], v[166:167]
	s_clause 0x1
	buffer_load_dword v168, off, s[60:63], 0 offset:12
	buffer_load_dword v169, off, s[60:63], 0 offset:16
	v_add_f64 v[46:47], v[166:167], v[46:47]
	s_waitcnt vmcnt(0)
	v_add_f64 v[194:195], v[194:195], -v[168:169]
	s_clause 0x1
	buffer_load_dword v168, off, s[60:63], 0 offset:76
	buffer_load_dword v169, off, s[60:63], 0 offset:80
	v_add_f64 v[52:53], v[194:195], v[52:53]
	s_waitcnt vmcnt(0)
	v_add_f64 v[196:197], v[168:169], v[196:197]
	s_clause 0x1
	buffer_load_dword v168, off, s[60:63], 0 offset:44
	buffer_load_dword v169, off, s[60:63], 0 offset:48
	v_add_f64 v[46:47], v[196:197], v[46:47]
	v_add_f64 v[46:47], v[200:201], v[46:47]
	s_waitcnt vmcnt(0)
	v_add_f64 v[198:199], v[198:199], -v[168:169]
	s_clause 0x1
	buffer_load_dword v168, off, s[60:63], 0 offset:164
	buffer_load_dword v169, off, s[60:63], 0 offset:168
	v_add_f64 v[52:53], v[198:199], v[52:53]
	s_waitcnt vmcnt(0)
	v_add_f64 v[205:206], v[205:206], -v[168:169]
	v_mul_f64 v[168:169], v[132:133], s[30:31]
	v_add_f64 v[52:53], v[205:206], v[52:53]
	v_add_f64 v[168:169], v[209:210], v[168:169]
	v_mul_f64 v[209:210], v[106:107], s[30:31]
	v_add_f64 v[46:47], v[168:169], v[46:47]
	v_add_f64 v[202:203], v[209:210], -v[203:204]
	v_mul_f64 v[209:210], v[136:137], s[40:41]
	v_add_f64 v[52:53], v[202:203], v[52:53]
	v_add_f64 v[209:210], v[213:214], v[209:210]
	v_mul_f64 v[213:214], v[108:109], s[40:41]
	v_add_f64 v[46:47], v[209:210], v[46:47]
	v_add_f64 v[207:208], v[213:214], -v[207:208]
	v_mul_f64 v[213:214], v[134:135], s[36:37]
	v_add_f64 v[52:53], v[207:208], v[52:53]
	v_add_f64 v[213:214], v[217:218], v[213:214]
	v_mul_f64 v[217:218], v[104:105], s[36:37]
	v_add_f64 v[211:212], v[217:218], -v[211:212]
	v_mul_f64 v[217:218], v[90:91], s[22:23]
	v_add_f64 v[217:218], v[221:222], v[217:218]
	v_mul_f64 v[221:222], v[76:77], s[22:23]
	v_add_f64 v[42:43], v[217:218], v[42:43]
	v_add_f64 v[215:216], v[221:222], -v[215:216]
	v_mul_f64 v[221:222], v[102:103], s[30:31]
	v_add_f64 v[44:45], v[215:216], v[44:45]
	v_add_f64 v[221:222], v[225:226], v[221:222]
	v_mul_f64 v[225:226], v[80:81], s[30:31]
	v_add_f64 v[42:43], v[221:222], v[42:43]
	v_add_f64 v[219:220], v[225:226], -v[219:220]
	v_mul_f64 v[225:226], v[122:123], s[36:37]
	v_add_f64 v[44:45], v[219:220], v[44:45]
	;; [unrolled: 6-line block ×6, first 2 shown]
	v_add_f64 v[247:248], v[249:250], v[247:248]
	v_mul_f64 v[249:250], v[104:105], s[8:9]
	v_add_f64 v[233:234], v[249:250], -v[233:234]
	v_mul_f64 v[249:250], v[90:91], s[30:31]
	v_add_f64 v[249:250], v[251:252], v[249:250]
	v_mul_f64 v[251:252], v[76:77], s[30:31]
	v_add_f64 v[38:39], v[249:250], v[38:39]
	v_add_f64 v[235:236], v[251:252], -v[235:236]
	v_mul_f64 v[251:252], v[138:139], s[16:17]
	v_add_f64 v[40:41], v[235:236], v[40:41]
	v_add_f64 v[152:153], v[152:153], v[251:252]
	v_mul_f64 v[251:252], v[102:103], s[36:37]
	v_add_f64 v[144:145], v[144:145], v[251:252]
	v_mul_f64 v[251:252], v[80:81], s[36:37]
	v_add_f64 v[38:39], v[144:145], v[38:39]
	v_add_f64 v[241:242], v[251:252], -v[241:242]
	v_mul_f64 v[251:252], v[122:123], s[24:25]
	v_add_f64 v[40:41], v[241:242], v[40:41]
	v_add_f64 v[148:149], v[148:149], v[251:252]
	v_mul_f64 v[251:252], v[88:89], s[24:25]
	v_add_f64 v[38:39], v[148:149], v[38:39]
	v_add_f64 v[243:244], v[251:252], -v[243:244]
	v_mul_f64 v[251:252], v[100:101], s[16:17]
	v_add_f64 v[38:39], v[152:153], v[38:39]
	v_add_f64 v[40:41], v[243:244], v[40:41]
	v_add_f64 v[251:252], v[251:252], -v[253:254]
	v_mul_f64 v[253:254], v[132:133], s[8:9]
	v_add_f64 v[40:41], v[251:252], v[40:41]
	v_add_f64 v[150:151], v[150:151], v[253:254]
	v_mul_f64 v[253:254], v[106:107], s[8:9]
	v_add_f64 v[38:39], v[150:151], v[38:39]
	v_add_f64 v[140:141], v[253:254], -v[140:141]
	v_fma_f64 v[253:254], v[76:77], s[18:19], v[68:69]
	v_fma_f64 v[68:69], v[76:77], s[18:19], -v[68:69]
	v_add_f64 v[40:41], v[140:141], v[40:41]
	v_add_f64 v[56:57], v[253:254], v[56:57]
	;; [unrolled: 1-line block ×3, first 2 shown]
	v_fma_f64 v[68:69], v[80:81], s[22:23], v[66:67]
	v_add_f64 v[48:49], v[64:65], v[48:49]
	v_fma_f64 v[64:65], v[92:93], s[52:53], v[72:73]
	v_add_f64 v[56:57], v[68:69], v[56:57]
	v_add_f64 v[54:55], v[64:65], v[54:55]
	v_fma_f64 v[64:65], v[88:89], s[16:17], -v[74:75]
	v_add_f64 v[58:59], v[64:65], v[58:59]
	v_mul_f64 v[64:65], v[122:123], s[30:31]
	v_fma_f64 v[66:67], v[92:93], s[34:35], v[64:65]
	v_fma_f64 v[64:65], v[92:93], s[54:55], v[64:65]
	v_add_f64 v[62:63], v[66:67], v[62:63]
	v_mul_f64 v[66:67], v[94:95], s[54:55]
	v_add_f64 v[60:61], v[64:65], v[60:61]
	v_fma_f64 v[64:65], v[88:89], s[30:31], -v[66:67]
	v_fma_f64 v[68:69], v[88:89], s[30:31], v[66:67]
	v_add_f64 v[48:49], v[64:65], v[48:49]
	v_fma_f64 v[64:65], v[110:111], s[34:35], v[142:143]
	v_add_f64 v[56:57], v[68:69], v[56:57]
	v_add_f64 v[54:55], v[64:65], v[54:55]
	v_fma_f64 v[64:65], v[100:101], s[30:31], -v[146:147]
	v_add_f64 v[58:59], v[64:65], v[58:59]
	v_mul_f64 v[64:65], v[138:139], s[8:9]
	v_fma_f64 v[66:67], v[110:111], s[48:49], v[64:65]
	v_fma_f64 v[64:65], v[110:111], s[4:5], v[64:65]
	v_add_f64 v[62:63], v[66:67], v[62:63]
	v_mul_f64 v[66:67], v[120:121], s[4:5]
	v_add_f64 v[60:61], v[64:65], v[60:61]
	v_fma_f64 v[64:65], v[100:101], s[8:9], -v[66:67]
	;; [unrolled: 14-line block ×3, first 2 shown]
	v_fma_f64 v[68:69], v[106:107], s[36:37], v[66:67]
	v_add_f64 v[48:49], v[64:65], v[48:49]
	v_fma_f64 v[64:65], v[128:129], s[26:27], v[158:159]
	v_add_f64 v[56:57], v[68:69], v[56:57]
	v_add_f64 v[54:55], v[64:65], v[54:55]
	v_fma_f64 v[64:65], v[108:109], s[24:25], -v[160:161]
	v_add_f64 v[14:15], v[14:15], v[54:55]
	v_add_f64 v[58:59], v[64:65], v[58:59]
	v_mul_f64 v[64:65], v[136:137], s[16:17]
	v_fma_f64 v[66:67], v[128:129], s[10:11], v[64:65]
	v_fma_f64 v[64:65], v[128:129], s[52:53], v[64:65]
	v_add_f64 v[62:63], v[66:67], v[62:63]
	v_mul_f64 v[66:67], v[130:131], s[52:53]
	v_add_f64 v[60:61], v[64:65], v[60:61]
	v_fma_f64 v[68:69], v[108:109], s[16:17], v[66:67]
	v_fma_f64 v[64:65], v[108:109], s[16:17], -v[66:67]
	s_clause 0x1
	buffer_load_dword v66, off, s[60:63], 0 offset:172
	buffer_load_dword v67, off, s[60:63], 0 offset:176
	v_add_f64 v[56:57], v[68:69], v[56:57]
	s_clause 0x7
	buffer_load_dword v68, off, s[60:63], 0 offset:108
	buffer_load_dword v69, off, s[60:63], 0 offset:112
	;; [unrolled: 1-line block ×8, first 2 shown]
	v_add_f64 v[48:49], v[64:65], v[48:49]
	v_mul_f64 v[64:65], v[136:137], s[22:23]
	s_waitcnt vmcnt(8)
	v_add_f64 v[64:65], v[66:67], v[64:65]
	v_mul_f64 v[66:67], v[108:109], s[22:23]
	v_add_f64 v[38:39], v[64:65], v[38:39]
	s_waitcnt vmcnt(6)
	v_add_f64 v[66:67], v[66:67], -v[68:69]
	v_mul_f64 v[64:65], v[104:105], s[40:41]
	v_mul_f64 v[68:69], v[134:135], s[40:41]
	v_add_f64 v[40:41], v[66:67], v[40:41]
	v_mul_f64 v[66:67], v[90:91], s[36:37]
	s_waitcnt vmcnt(4)
	v_add_f64 v[64:65], v[64:65], -v[70:71]
	v_mul_f64 v[70:71], v[102:103], s[24:25]
	v_add_f64 v[68:69], v[174:175], v[68:69]
	v_add_f64 v[66:67], v[180:181], v[66:67]
	;; [unrolled: 1-line block ×5, first 2 shown]
	v_mul_f64 v[66:67], v[76:77], s[36:37]
	v_add_f64 v[34:35], v[70:71], v[34:35]
	v_mul_f64 v[70:71], v[80:81], s[24:25]
	s_waitcnt vmcnt(2)
	v_add_f64 v[66:67], v[66:67], -v[72:73]
	v_mul_f64 v[72:73], v[122:123], s[8:9]
	s_waitcnt vmcnt(0)
	v_add_f64 v[70:71], v[70:71], -v[74:75]
	s_clause 0x1
	buffer_load_dword v74, off, s[60:63], 0 offset:156
	buffer_load_dword v75, off, s[60:63], 0 offset:160
	v_add_f64 v[72:73], v[188:189], v[72:73]
	v_add_f64 v[36:37], v[66:67], v[36:37]
	v_mul_f64 v[66:67], v[138:139], s[18:19]
	v_add_f64 v[34:35], v[72:73], v[34:35]
	v_mul_f64 v[72:73], v[88:89], s[8:9]
	v_add_f64 v[36:37], v[70:71], v[36:37]
	v_mul_f64 v[70:71], v[100:101], s[18:19]
	v_add_f64 v[66:67], v[190:191], v[66:67]
	v_add_f64 v[70:71], v[70:71], -v[170:171]
	v_add_f64 v[34:35], v[66:67], v[34:35]
	v_mul_f64 v[66:67], v[106:107], s[40:41]
	v_add_f64 v[66:67], v[66:67], -v[172:173]
	s_waitcnt vmcnt(0)
	v_add_f64 v[72:73], v[72:73], -v[74:75]
	v_add_f64 v[36:37], v[72:73], v[36:37]
	v_mul_f64 v[72:73], v[132:133], s[40:41]
	v_add_f64 v[36:37], v[70:71], v[36:37]
	v_add_f64 v[72:73], v[182:183], v[72:73]
	v_mul_f64 v[70:71], v[136:137], s[30:31]
	v_add_f64 v[36:37], v[66:67], v[36:37]
	v_add_f64 v[34:35], v[72:73], v[34:35]
	;; [unrolled: 1-line block ×3, first 2 shown]
	v_mul_f64 v[72:73], v[108:109], s[30:31]
	v_mul_f64 v[66:67], v[134:135], s[16:17]
	v_add_f64 v[70:71], v[70:71], v[34:35]
	v_mul_f64 v[34:35], v[104:105], s[16:17]
	v_add_f64 v[72:73], v[72:73], -v[176:177]
	v_add_f64 v[66:67], v[192:193], v[66:67]
	v_add_f64 v[74:75], v[34:35], -v[178:179]
	v_mul_f64 v[34:35], v[90:91], s[40:41]
	v_mul_f64 v[90:91], v[90:91], s[24:25]
	v_add_f64 v[72:73], v[72:73], v[36:37]
	v_fma_f64 v[140:141], v[78:79], s[46:47], v[34:35]
	v_fma_f64 v[34:35], v[78:79], s[42:43], v[34:35]
	v_add_f64 v[30:31], v[140:141], v[30:31]
	v_mul_f64 v[140:141], v[102:103], s[16:17]
	v_mul_f64 v[102:103], v[102:103], s[8:9]
	v_add_f64 v[16:17], v[34:35], v[16:17]
	v_fma_f64 v[142:143], v[86:87], s[52:53], v[140:141]
	v_fma_f64 v[34:35], v[86:87], s[10:11], v[140:141]
	v_add_f64 v[30:31], v[142:143], v[30:31]
	;; [unrolled: 6-line block ×3, first 2 shown]
	v_mul_f64 v[144:145], v[82:83], s[46:47]
	v_mul_f64 v[82:83], v[82:83], s[28:29]
	v_add_f64 v[16:17], v[34:35], v[16:17]
	v_fma_f64 v[146:147], v[76:77], s[40:41], -v[144:145]
	v_add_f64 v[32:33], v[146:147], v[32:33]
	v_mul_f64 v[146:147], v[84:85], s[52:53]
	v_mul_f64 v[84:85], v[84:85], s[4:5]
	v_fma_f64 v[148:149], v[80:81], s[16:17], -v[146:147]
	v_add_f64 v[32:33], v[148:149], v[32:33]
	v_mul_f64 v[148:149], v[94:95], s[6:7]
	v_mul_f64 v[94:95], v[94:95], s[42:43]
	;; [unrolled: 4-line block ×3, first 2 shown]
	v_fma_f64 v[152:153], v[110:111], s[38:39], v[150:151]
	v_fma_f64 v[34:35], v[110:111], s[50:51], v[150:151]
	v_add_f64 v[30:31], v[152:153], v[30:31]
	v_mul_f64 v[152:153], v[120:121], s[38:39]
	v_mul_f64 v[120:121], v[120:121], s[56:57]
	v_add_f64 v[16:17], v[34:35], v[16:17]
	v_fma_f64 v[154:155], v[100:101], s[36:37], -v[152:153]
	v_add_f64 v[32:33], v[154:155], v[32:33]
	v_mul_f64 v[154:155], v[132:133], s[22:23]
	v_fma_f64 v[156:157], v[124:125], s[56:57], v[154:155]
	v_add_f64 v[30:31], v[156:157], v[30:31]
	v_mul_f64 v[156:157], v[112:113], s[56:57]
	v_fma_f64 v[158:159], v[106:107], s[22:23], -v[156:157]
	v_add_f64 v[32:33], v[158:159], v[32:33]
	v_fma_f64 v[158:159], v[78:79], s[28:29], v[90:91]
	v_fma_f64 v[90:91], v[78:79], s[26:27], v[90:91]
	;; [unrolled: 1-line block ×3, first 2 shown]
	v_add_f64 v[28:29], v[158:159], v[28:29]
	v_fma_f64 v[158:159], v[86:87], s[4:5], v[102:103]
	v_add_f64 v[22:23], v[90:91], v[22:23]
	v_mul_f64 v[90:91], v[136:137], s[36:37]
	v_add_f64 v[28:29], v[158:159], v[28:29]
	v_fma_f64 v[158:159], v[92:93], s[42:43], v[122:123]
	v_add_f64 v[28:29], v[158:159], v[28:29]
	v_fma_f64 v[158:159], v[110:111], s[56:57], v[138:139]
	v_add_f64 v[28:29], v[158:159], v[28:29]
	v_fma_f64 v[158:159], v[76:77], s[24:25], -v[82:83]
	v_fma_f64 v[82:83], v[76:77], s[24:25], v[82:83]
	v_fma_f64 v[76:77], v[76:77], s[40:41], v[144:145]
	v_add_f64 v[50:51], v[158:159], v[50:51]
	v_add_f64 v[20:21], v[82:83], v[20:21]
	v_fma_f64 v[82:83], v[86:87], s[48:49], v[102:103]
	v_fma_f64 v[158:159], v[80:81], s[8:9], -v[84:85]
	v_add_f64 v[12:13], v[76:77], v[12:13]
	v_fma_f64 v[76:77], v[80:81], s[16:17], v[146:147]
	v_mul_f64 v[80:81], v[112:113], s[10:11]
	v_fma_f64 v[86:87], v[106:107], s[22:23], v[156:157]
	v_mul_f64 v[102:103], v[134:135], s[18:19]
	v_add_f64 v[20:21], v[78:79], v[20:21]
	v_fma_f64 v[78:79], v[88:89], s[40:41], v[94:95]
	v_add_f64 v[22:23], v[82:83], v[22:23]
	v_fma_f64 v[82:83], v[92:93], s[46:47], v[122:123]
	v_add_f64 v[50:51], v[158:159], v[50:51]
	v_fma_f64 v[158:159], v[88:89], s[40:41], -v[94:95]
	v_add_f64 v[12:13], v[76:77], v[12:13]
	v_fma_f64 v[76:77], v[88:89], s[18:19], v[148:149]
	v_fma_f64 v[84:85], v[106:107], s[16:17], -v[80:81]
	v_fma_f64 v[80:81], v[106:107], s[16:17], v[80:81]
	v_mul_f64 v[88:89], v[130:131], s[4:5]
	v_mul_f64 v[92:93], v[130:131], s[38:39]
	;; [unrolled: 1-line block ×4, first 2 shown]
	v_add_f64 v[20:21], v[78:79], v[20:21]
	v_fma_f64 v[78:79], v[100:101], s[22:23], v[120:121]
	v_add_f64 v[22:23], v[82:83], v[22:23]
	v_fma_f64 v[82:83], v[110:111], s[20:21], v[138:139]
	v_add_f64 v[50:51], v[158:159], v[50:51]
	v_fma_f64 v[158:159], v[100:101], s[22:23], -v[120:121]
	v_add_f64 v[12:13], v[76:77], v[12:13]
	v_fma_f64 v[76:77], v[100:101], s[36:37], v[152:153]
	v_mul_f64 v[100:101], v[126:127], s[34:35]
	v_fma_f64 v[112:113], v[104:105], s[18:19], -v[106:107]
	v_fma_f64 v[106:107], v[104:105], s[18:19], v[106:107]
	v_add_f64 v[20:21], v[78:79], v[20:21]
	v_mul_f64 v[78:79], v[132:133], s[16:17]
	v_add_f64 v[22:23], v[82:83], v[22:23]
	v_fma_f64 v[82:83], v[124:125], s[20:21], v[154:155]
	v_add_f64 v[50:51], v[158:159], v[50:51]
	v_add_f64 v[12:13], v[76:77], v[12:13]
	v_mul_f64 v[76:77], v[136:137], s[8:9]
	v_fma_f64 v[110:111], v[104:105], s[30:31], -v[100:101]
	v_fma_f64 v[100:101], v[104:105], s[30:31], v[100:101]
	v_add_f64 v[20:21], v[80:81], v[20:21]
	v_fma_f64 v[34:35], v[124:125], s[10:11], v[78:79]
	v_fma_f64 v[78:79], v[124:125], s[52:53], v[78:79]
	v_add_f64 v[16:17], v[82:83], v[16:17]
	v_fma_f64 v[82:83], v[128:129], s[38:39], v[90:91]
	v_fma_f64 v[90:91], v[128:129], s[50:51], v[90:91]
	v_add_f64 v[50:51], v[84:85], v[50:51]
	v_mul_f64 v[84:85], v[126:127], s[26:27]
	v_fma_f64 v[80:81], v[108:109], s[8:9], -v[88:89]
	v_add_f64 v[12:13], v[86:87], v[12:13]
	v_fma_f64 v[86:87], v[108:109], s[36:37], -v[92:93]
	v_fma_f64 v[92:93], v[108:109], s[36:37], v[92:93]
	v_fma_f64 v[88:89], v[108:109], s[8:9], v[88:89]
	;; [unrolled: 1-line block ×4, first 2 shown]
	v_add_f64 v[28:29], v[34:35], v[28:29]
	v_mul_f64 v[34:35], v[134:135], s[24:25]
	v_add_f64 v[22:23], v[78:79], v[22:23]
	v_fma_f64 v[78:79], v[128:129], s[4:5], v[76:77]
	v_fma_f64 v[76:77], v[128:129], s[48:49], v[76:77]
	v_add_f64 v[80:81], v[80:81], v[32:33]
	v_add_f64 v[32:33], v[233:234], v[44:45]
	;; [unrolled: 1-line block ×3, first 2 shown]
	v_fma_f64 v[50:51], v[114:115], s[44:45], v[102:103]
	v_add_f64 v[92:93], v[92:93], v[20:21]
	v_fma_f64 v[102:103], v[114:115], s[6:7], v[102:103]
	v_add_f64 v[88:89], v[88:89], v[12:13]
	v_add_f64 v[12:13], v[18:19], v[58:59]
	;; [unrolled: 1-line block ×3, first 2 shown]
	v_fma_f64 v[36:37], v[114:115], s[28:29], v[34:35]
	v_fma_f64 v[34:35], v[114:115], s[26:27], v[34:35]
	v_add_f64 v[90:91], v[90:91], v[22:23]
	v_add_f64 v[78:79], v[78:79], v[30:31]
	v_fma_f64 v[30:31], v[104:105], s[24:25], v[84:85]
	v_fma_f64 v[84:85], v[104:105], s[24:25], -v[84:85]
	v_add_f64 v[76:77], v[76:77], v[16:17]
	v_add_f64 v[28:29], v[211:212], v[52:53]
	;; [unrolled: 1-line block ×7, first 2 shown]
	buffer_load_dword v60, off, s[60:63], 0 ; 4-byte Folded Reload
	v_add_f64 v[34:35], v[247:248], v[42:43]
	v_add_f64 v[16:17], v[30:31], v[56:57]
	v_add_f64 v[30:31], v[213:214], v[46:47]
	v_add_f64 v[36:37], v[64:65], v[40:41]
	v_add_f64 v[42:43], v[66:67], v[70:71]
	v_add_f64 v[40:41], v[74:75], v[72:73]
	v_add_f64 v[46:47], v[108:109], v[78:79]
	v_add_f64 v[20:21], v[84:85], v[48:49]
	v_add_f64 v[48:49], v[112:113], v[86:87]
	v_add_f64 v[54:55], v[102:103], v[90:91]
	v_add_f64 v[58:59], v[94:95], v[76:77]
	v_add_f64 v[56:57], v[100:101], v[88:89]
	v_mov_b32_e32 v61, 4
	s_waitcnt vmcnt(0)
	v_mul_lo_u16 v60, v60, 17
	v_lshlrev_b32_sdwa v60, v61, v60 dst_sel:DWORD dst_unused:UNUSED_PAD src0_sel:DWORD src1_sel:WORD_0
	ds_write_b128 v60, v[4:7]
	ds_write_b128 v60, v[28:31] offset:16
	ds_write_b128 v60, v[32:35] offset:32
	;; [unrolled: 1-line block ×16, first 2 shown]
.LBB0_7:
	s_or_b32 exec_lo, exec_lo, s33
	buffer_load_dword v224, off, s[60:63], 0 ; 4-byte Folded Reload
	s_load_dwordx4 s[4:7], s[0:1], 0x0
	s_waitcnt vmcnt(0) lgkmcnt(0)
	s_barrier
	buffer_gl0_inv
	s_mov_b32 s28, 0x42a4c3d2
	s_mov_b32 s30, 0x66966769
	;; [unrolled: 1-line block ×30, first 2 shown]
	v_and_b32_e32 v0, 0xff, v224
	v_mul_lo_u16 v0, 0xf1, v0
	v_lshrrev_b16 v205, 12, v0
	v_mul_lo_u16 v0, v205, 17
	v_sub_nc_u16 v0, v224, v0
	v_and_b32_e32 v200, 0xff, v0
	v_mul_u32_u24_e32 v0, 12, v200
	v_lshlrev_b32_e32 v112, 4, v0
	s_clause 0x7
	global_load_dwordx4 v[92:95], v112, s[2:3]
	global_load_dwordx4 v[88:91], v112, s[2:3] offset:16
	global_load_dwordx4 v[84:87], v112, s[2:3] offset:32
	;; [unrolled: 1-line block ×7, first 2 shown]
	ds_read_b128 v[0:3], v255 offset:2448
	ds_read_b128 v[4:7], v255 offset:4896
	;; [unrolled: 1-line block ×3, first 2 shown]
	s_clause 0x2
	global_load_dwordx4 v[100:103], v112, s[2:3] offset:128
	global_load_dwordx4 v[104:107], v112, s[2:3] offset:144
	;; [unrolled: 1-line block ×3, first 2 shown]
	ds_read_b128 v[16:19], v255 offset:9792
	ds_read_b128 v[146:149], v255
	ds_read_b128 v[20:23], v255 offset:12240
	global_load_dwordx4 v[112:115], v112, s[2:3] offset:176
	s_waitcnt vmcnt(11) lgkmcnt(5)
	v_mul_f64 v[28:29], v[2:3], v[94:95]
	s_waitcnt vmcnt(10) lgkmcnt(4)
	v_mul_f64 v[32:33], v[6:7], v[90:91]
	v_mul_f64 v[34:35], v[4:5], v[90:91]
	;; [unrolled: 1-line block ×3, first 2 shown]
	s_waitcnt vmcnt(9) lgkmcnt(3)
	v_mul_f64 v[36:37], v[14:15], v[86:87]
	v_mul_f64 v[38:39], v[12:13], v[86:87]
	v_fma_f64 v[0:1], v[0:1], v[92:93], -v[28:29]
	v_fma_f64 v[52:53], v[4:5], v[88:89], -v[32:33]
	v_fma_f64 v[54:55], v[6:7], v[88:89], v[34:35]
	s_waitcnt vmcnt(8) lgkmcnt(2)
	v_mul_f64 v[4:5], v[18:19], v[82:83]
	v_mul_f64 v[6:7], v[16:17], v[82:83]
	v_fma_f64 v[2:3], v[2:3], v[92:93], v[30:31]
	ds_read_b128 v[28:31], v255 offset:14688
	v_fma_f64 v[60:61], v[12:13], v[84:85], -v[36:37]
	v_fma_f64 v[62:63], v[14:15], v[84:85], v[38:39]
	s_waitcnt vmcnt(7) lgkmcnt(1)
	v_mul_f64 v[12:13], v[22:23], v[78:79]
	v_mul_f64 v[14:15], v[20:21], v[78:79]
	v_fma_f64 v[124:125], v[16:17], v[80:81], -v[4:5]
	v_fma_f64 v[126:127], v[18:19], v[80:81], v[6:7]
	ds_read_b128 v[4:7], v255 offset:17136
	s_waitcnt vmcnt(6) lgkmcnt(1)
	v_mul_f64 v[16:17], v[30:31], v[74:75]
	v_mul_f64 v[18:19], v[28:29], v[74:75]
	v_add_f64 v[142:143], v[148:149], v[2:3]
	v_fma_f64 v[128:129], v[20:21], v[76:77], -v[12:13]
	v_fma_f64 v[130:131], v[22:23], v[76:77], v[14:15]
	s_waitcnt vmcnt(5) lgkmcnt(0)
	v_mul_f64 v[12:13], v[6:7], v[70:71]
	v_mul_f64 v[14:15], v[4:5], v[70:71]
	v_fma_f64 v[132:133], v[28:29], v[72:73], -v[16:17]
	v_fma_f64 v[134:135], v[30:31], v[72:73], v[18:19]
	v_fma_f64 v[56:57], v[4:5], v[68:69], -v[12:13]
	v_fma_f64 v[58:59], v[6:7], v[68:69], v[14:15]
	ds_read_b128 v[4:7], v255 offset:19584
	s_waitcnt vmcnt(4) lgkmcnt(0)
	v_mul_f64 v[12:13], v[6:7], v[66:67]
	v_add_f64 v[212:213], v[132:133], v[56:57]
	v_add_f64 v[218:219], v[134:135], v[58:59]
	v_fma_f64 v[48:49], v[4:5], v[64:65], -v[12:13]
	v_mul_f64 v[4:5], v[4:5], v[66:67]
	v_add_f64 v[203:204], v[128:129], -v[48:49]
	v_fma_f64 v[50:51], v[6:7], v[64:65], v[4:5]
	ds_read_b128 v[4:7], v255 offset:22032
	s_waitcnt vmcnt(3) lgkmcnt(0)
	v_mul_f64 v[12:13], v[6:7], v[102:103]
	v_add_f64 v[201:202], v[130:131], -v[50:51]
	v_mul_f64 v[208:209], v[203:204], s[24:25]
	v_fma_f64 v[44:45], v[4:5], v[100:101], -v[12:13]
	v_mul_f64 v[4:5], v[4:5], v[102:103]
	v_mul_f64 v[206:207], v[201:202], s[24:25]
	v_add_f64 v[182:183], v[124:125], -v[44:45]
	v_fma_f64 v[46:47], v[6:7], v[100:101], v[4:5]
	ds_read_b128 v[4:7], v255 offset:24480
	s_waitcnt vmcnt(2) lgkmcnt(0)
	v_mul_f64 v[12:13], v[6:7], v[106:107]
	v_add_f64 v[180:181], v[126:127], -v[46:47]
	v_mul_f64 v[198:199], v[182:183], s[20:21]
	v_fma_f64 v[40:41], v[4:5], v[104:105], -v[12:13]
	v_mul_f64 v[4:5], v[4:5], v[106:107]
	v_mul_f64 v[196:197], v[180:181], s[20:21]
	v_fma_f64 v[42:43], v[6:7], v[104:105], v[4:5]
	ds_read_b128 v[4:7], v255 offset:26928
	s_waitcnt vmcnt(1) lgkmcnt(0)
	v_mul_f64 v[12:13], v[6:7], v[110:111]
	v_fma_f64 v[36:37], v[4:5], v[108:109], -v[12:13]
	v_mul_f64 v[4:5], v[4:5], v[110:111]
	v_fma_f64 v[38:39], v[6:7], v[108:109], v[4:5]
	ds_read_b128 v[4:7], v255 offset:29376
	s_waitcnt vmcnt(0) lgkmcnt(0)
	s_barrier
	buffer_gl0_inv
	v_mul_f64 v[12:13], v[6:7], v[114:115]
	v_fma_f64 v[136:137], v[4:5], v[112:113], -v[12:13]
	v_mul_f64 v[4:5], v[4:5], v[114:115]
	v_add_f64 v[20:21], v[0:1], v[136:137]
	v_fma_f64 v[138:139], v[6:7], v[112:113], v[4:5]
	v_add_f64 v[4:5], v[2:3], -v[138:139]
	v_add_f64 v[140:141], v[2:3], v[138:139]
	v_mul_f64 v[6:7], v[4:5], s[22:23]
	v_mul_f64 v[12:13], v[4:5], s[28:29]
	v_mul_f64 v[14:15], v[4:5], s[30:31]
	v_mul_f64 v[16:17], v[4:5], s[20:21]
	v_mul_f64 v[18:19], v[4:5], s[24:25]
	v_mul_f64 v[4:5], v[4:5], s[34:35]
	v_fma_f64 v[22:23], v[20:21], s[16:17], -v[6:7]
	v_fma_f64 v[28:29], v[20:21], s[10:11], -v[12:13]
	v_fma_f64 v[30:31], v[20:21], s[10:11], v[12:13]
	v_fma_f64 v[120:121], v[20:21], s[8:9], -v[16:17]
	v_fma_f64 v[122:123], v[20:21], s[8:9], v[16:17]
	;; [unrolled: 2-line block ×3, first 2 shown]
	v_add_f64 v[4:5], v[0:1], -v[136:137]
	v_fma_f64 v[144:145], v[20:21], s[18:19], -v[18:19]
	v_fma_f64 v[150:151], v[20:21], s[18:19], v[18:19]
	v_fma_f64 v[6:7], v[20:21], s[16:17], v[6:7]
	v_fma_f64 v[32:33], v[20:21], s[0:1], -v[14:15]
	v_fma_f64 v[34:35], v[20:21], s[0:1], v[14:15]
	v_add_f64 v[30:31], v[146:147], v[30:31]
	v_add_f64 v[122:123], v[146:147], v[122:123]
	v_mul_f64 v[12:13], v[4:5], s[22:23]
	v_mul_f64 v[16:17], v[4:5], s[30:31]
	v_mul_f64 v[18:19], v[4:5], s[20:21]
	v_mul_f64 v[14:15], v[4:5], s[28:29]
	v_mul_f64 v[20:21], v[4:5], s[24:25]
	v_mul_f64 v[4:5], v[4:5], s[34:35]
	s_mov_b32 s23, 0x3fddbe06
	v_fma_f64 v[154:155], v[140:141], s[16:17], v[12:13]
	v_fma_f64 v[162:163], v[140:141], s[0:1], v[16:17]
	v_fma_f64 v[168:169], v[140:141], s[8:9], -v[18:19]
	v_fma_f64 v[12:13], v[140:141], s[16:17], -v[12:13]
	v_fma_f64 v[158:159], v[140:141], s[10:11], v[14:15]
	v_fma_f64 v[160:161], v[140:141], s[10:11], -v[14:15]
	v_fma_f64 v[164:165], v[140:141], s[0:1], -v[16:17]
	v_fma_f64 v[166:167], v[140:141], s[8:9], v[18:19]
	v_fma_f64 v[170:171], v[140:141], s[18:19], v[20:21]
	v_fma_f64 v[172:173], v[140:141], s[18:19], -v[20:21]
	v_fma_f64 v[174:175], v[140:141], s[26:27], v[4:5]
	v_fma_f64 v[176:177], v[140:141], s[26:27], -v[4:5]
	v_add_f64 v[140:141], v[146:147], v[0:1]
	v_add_f64 v[0:1], v[146:147], v[22:23]
	v_add_f64 v[22:23], v[146:147], v[6:7]
	v_add_f64 v[14:15], v[146:147], v[28:29]
	v_add_f64 v[18:19], v[146:147], v[32:33]
	v_add_f64 v[6:7], v[146:147], v[34:35]
	v_add_f64 v[34:35], v[146:147], v[120:121]
	v_add_f64 v[2:3], v[148:149], v[154:155]
	v_add_f64 v[16:17], v[148:149], v[162:163]
	v_add_f64 v[120:121], v[148:149], v[168:169]
	v_add_f64 v[168:169], v[146:147], v[144:145]
	v_add_f64 v[162:163], v[146:147], v[150:151]
	v_add_f64 v[154:155], v[146:147], v[152:153]
	v_add_f64 v[146:147], v[146:147], v[156:157]
	v_add_f64 v[156:157], v[54:55], -v[38:39]
	v_add_f64 v[20:21], v[148:149], v[12:13]
	v_add_f64 v[12:13], v[148:149], v[158:159]
	;; [unrolled: 1-line block ×10, first 2 shown]
	v_add_f64 v[158:159], v[52:53], -v[36:37]
	v_add_f64 v[172:173], v[62:63], -v[42:43]
	;; [unrolled: 1-line block ×3, first 2 shown]
	v_add_f64 v[52:53], v[140:141], v[52:53]
	v_mul_f64 v[184:185], v[156:157], s[28:29]
	v_mul_f64 v[186:187], v[158:159], s[28:29]
	;; [unrolled: 1-line block ×4, first 2 shown]
	v_add_f64 v[52:53], v[52:53], v[60:61]
	v_fma_f64 v[150:151], v[148:149], s[10:11], -v[184:185]
	v_fma_f64 v[184:185], v[148:149], s[10:11], v[184:185]
	v_add_f64 v[52:53], v[52:53], v[124:125]
	v_add_f64 v[0:1], v[150:151], v[0:1]
	;; [unrolled: 1-line block ×6, first 2 shown]
	v_fma_f64 v[164:165], v[150:151], s[10:11], v[186:187]
	v_fma_f64 v[184:185], v[150:151], s[10:11], -v[186:187]
	v_add_f64 v[54:55], v[54:55], v[62:63]
	v_add_f64 v[52:53], v[52:53], v[132:133]
	;; [unrolled: 1-line block ×7, first 2 shown]
	v_fma_f64 v[170:171], v[164:165], s[0:1], -v[188:189]
	v_fma_f64 v[184:185], v[164:165], s[0:1], v[188:189]
	v_add_f64 v[54:55], v[54:55], v[130:131]
	v_add_f64 v[0:1], v[170:171], v[0:1]
	;; [unrolled: 1-line block ×5, first 2 shown]
	v_fma_f64 v[176:177], v[170:171], s[0:1], v[190:191]
	v_fma_f64 v[184:185], v[170:171], s[0:1], -v[190:191]
	v_add_f64 v[54:55], v[54:55], v[58:59]
	v_add_f64 v[2:3], v[176:177], v[2:3]
	;; [unrolled: 1-line block ×4, first 2 shown]
	v_fma_f64 v[178:179], v[176:177], s[8:9], -v[196:197]
	v_fma_f64 v[184:185], v[176:177], s[8:9], v[196:197]
	v_add_f64 v[0:1], v[178:179], v[0:1]
	v_add_f64 v[178:179], v[126:127], v[46:47]
	;; [unrolled: 1-line block ×3, first 2 shown]
	v_fma_f64 v[192:193], v[178:179], s[8:9], v[198:199]
	v_fma_f64 v[184:185], v[178:179], s[8:9], -v[198:199]
	v_add_f64 v[2:3], v[192:193], v[2:3]
	v_add_f64 v[192:193], v[128:129], v[48:49]
	;; [unrolled: 1-line block ×4, first 2 shown]
	v_fma_f64 v[194:195], v[192:193], s[18:19], -v[206:207]
	v_fma_f64 v[184:185], v[192:193], s[18:19], v[206:207]
	v_add_f64 v[44:45], v[48:49], v[44:45]
	v_add_f64 v[0:1], v[194:195], v[0:1]
	;; [unrolled: 1-line block ×6, first 2 shown]
	v_fma_f64 v[210:211], v[194:195], s[18:19], v[208:209]
	v_fma_f64 v[184:185], v[194:195], s[18:19], -v[208:209]
	v_add_f64 v[46:47], v[50:51], v[46:47]
	v_add_f64 v[36:37], v[40:41], v[36:37]
	v_mov_b32_e32 v40, 0xdd
	v_mul_u32_u24_sdwa v40, v205, v40 dst_sel:DWORD dst_unused:UNUSED_PAD src0_sel:WORD_0 src1_sel:DWORD
	v_add_lshl_u32 v200, v40, v200, 4
	v_add_f64 v[2:3], v[210:211], v[2:3]
	v_add_f64 v[210:211], v[134:135], -v[58:59]
	v_add_f64 v[184:185], v[184:185], v[20:21]
	v_add_f64 v[42:43], v[46:47], v[42:43]
	;; [unrolled: 1-line block ×3, first 2 shown]
	v_mul_f64 v[214:215], v[210:211], s[34:35]
	v_add_f64 v[38:39], v[42:43], v[38:39]
	v_fma_f64 v[216:217], v[212:213], s[26:27], -v[214:215]
	v_fma_f64 v[20:21], v[212:213], s[26:27], v[214:215]
	v_add_f64 v[38:39], v[38:39], v[138:139]
	v_add_f64 v[0:1], v[216:217], v[0:1]
	v_add_f64 v[216:217], v[132:133], -v[56:57]
	v_add_f64 v[20:21], v[20:21], v[22:23]
	v_mul_f64 v[220:221], v[216:217], s[34:35]
	v_fma_f64 v[186:187], v[218:219], s[26:27], -v[220:221]
	v_fma_f64 v[222:223], v[218:219], s[26:27], v[220:221]
	v_mul_f64 v[220:221], v[210:211], s[22:23]
	v_add_f64 v[22:23], v[186:187], v[184:185]
	v_mul_f64 v[184:185], v[156:157], s[20:21]
	v_add_f64 v[2:3], v[222:223], v[2:3]
	v_mul_f64 v[222:223], v[216:217], s[22:23]
	v_fma_f64 v[186:187], v[148:149], s[8:9], -v[184:185]
	v_fma_f64 v[184:185], v[148:149], s[8:9], v[184:185]
	v_add_f64 v[14:15], v[186:187], v[14:15]
	v_mul_f64 v[186:187], v[158:159], s[20:21]
	v_add_f64 v[30:31], v[184:185], v[30:31]
	v_fma_f64 v[188:189], v[150:151], s[8:9], v[186:187]
	v_fma_f64 v[184:185], v[150:151], s[8:9], -v[186:187]
	v_fma_f64 v[186:187], v[218:219], s[16:17], -v[222:223]
	v_add_f64 v[12:13], v[188:189], v[12:13]
	v_mul_f64 v[188:189], v[172:173], s[34:35]
	v_add_f64 v[28:29], v[184:185], v[28:29]
	v_fma_f64 v[190:191], v[164:165], s[26:27], -v[188:189]
	v_fma_f64 v[184:185], v[164:165], s[26:27], v[188:189]
	v_add_f64 v[14:15], v[190:191], v[14:15]
	v_mul_f64 v[190:191], v[174:175], s[34:35]
	v_add_f64 v[30:31], v[184:185], v[30:31]
	v_fma_f64 v[196:197], v[170:171], s[26:27], v[190:191]
	v_fma_f64 v[184:185], v[170:171], s[26:27], -v[190:191]
	v_add_f64 v[12:13], v[196:197], v[12:13]
	v_mul_f64 v[196:197], v[180:181], s[38:39]
	v_add_f64 v[28:29], v[184:185], v[28:29]
	v_fma_f64 v[198:199], v[176:177], s[18:19], -v[196:197]
	v_fma_f64 v[184:185], v[176:177], s[18:19], v[196:197]
	v_add_f64 v[14:15], v[198:199], v[14:15]
	v_mul_f64 v[198:199], v[182:183], s[38:39]
	v_add_f64 v[30:31], v[184:185], v[30:31]
	v_fma_f64 v[206:207], v[178:179], s[18:19], v[198:199]
	v_fma_f64 v[184:185], v[178:179], s[18:19], -v[198:199]
	v_add_f64 v[12:13], v[206:207], v[12:13]
	v_mul_f64 v[206:207], v[201:202], s[36:37]
	v_add_f64 v[28:29], v[184:185], v[28:29]
	v_fma_f64 v[208:209], v[192:193], s[0:1], -v[206:207]
	v_fma_f64 v[184:185], v[192:193], s[0:1], v[206:207]
	v_add_f64 v[14:15], v[208:209], v[14:15]
	v_mul_f64 v[208:209], v[203:204], s[36:37]
	v_add_f64 v[30:31], v[184:185], v[30:31]
	v_fma_f64 v[184:185], v[194:195], s[0:1], -v[208:209]
	v_fma_f64 v[214:215], v[194:195], s[0:1], v[208:209]
	v_add_f64 v[184:185], v[184:185], v[28:29]
	v_fma_f64 v[28:29], v[212:213], s[16:17], v[220:221]
	v_add_f64 v[214:215], v[214:215], v[12:13]
	v_fma_f64 v[12:13], v[212:213], s[16:17], -v[220:221]
	v_mul_f64 v[220:221], v[210:211], s[24:25]
	v_add_f64 v[28:29], v[28:29], v[30:31]
	v_add_f64 v[30:31], v[186:187], v[184:185]
	v_mul_f64 v[184:185], v[156:157], s[34:35]
	v_add_f64 v[12:13], v[12:13], v[14:15]
	v_fma_f64 v[14:15], v[218:219], s[16:17], v[222:223]
	v_mul_f64 v[222:223], v[216:217], s[24:25]
	v_fma_f64 v[186:187], v[148:149], s[26:27], -v[184:185]
	v_fma_f64 v[184:185], v[148:149], s[26:27], v[184:185]
	v_add_f64 v[14:15], v[14:15], v[214:215]
	v_add_f64 v[18:19], v[186:187], v[18:19]
	v_mul_f64 v[186:187], v[158:159], s[34:35]
	v_add_f64 v[6:7], v[184:185], v[6:7]
	s_mov_b32 s35, 0x3fcea1e5
	v_fma_f64 v[188:189], v[150:151], s[26:27], v[186:187]
	v_fma_f64 v[184:185], v[150:151], s[26:27], -v[186:187]
	v_fma_f64 v[186:187], v[218:219], s[18:19], -v[222:223]
	v_add_f64 v[16:17], v[188:189], v[16:17]
	v_mul_f64 v[188:189], v[172:173], s[40:41]
	v_add_f64 v[4:5], v[184:185], v[4:5]
	v_fma_f64 v[190:191], v[164:165], s[8:9], -v[188:189]
	v_fma_f64 v[184:185], v[164:165], s[8:9], v[188:189]
	v_add_f64 v[18:19], v[190:191], v[18:19]
	v_mul_f64 v[190:191], v[174:175], s[40:41]
	v_add_f64 v[6:7], v[184:185], v[6:7]
	v_fma_f64 v[196:197], v[170:171], s[8:9], v[190:191]
	v_fma_f64 v[184:185], v[170:171], s[8:9], -v[190:191]
	v_add_f64 v[16:17], v[196:197], v[16:17]
	v_mul_f64 v[196:197], v[180:181], s[22:23]
	v_add_f64 v[4:5], v[184:185], v[4:5]
	v_fma_f64 v[198:199], v[176:177], s[16:17], -v[196:197]
	v_fma_f64 v[184:185], v[176:177], s[16:17], v[196:197]
	v_add_f64 v[18:19], v[198:199], v[18:19]
	v_mul_f64 v[198:199], v[182:183], s[22:23]
	v_add_f64 v[6:7], v[184:185], v[6:7]
	v_fma_f64 v[206:207], v[178:179], s[16:17], v[198:199]
	v_fma_f64 v[184:185], v[178:179], s[16:17], -v[198:199]
	v_add_f64 v[16:17], v[206:207], v[16:17]
	v_mul_f64 v[206:207], v[201:202], s[28:29]
	v_add_f64 v[4:5], v[184:185], v[4:5]
	v_fma_f64 v[208:209], v[192:193], s[10:11], -v[206:207]
	v_fma_f64 v[184:185], v[192:193], s[10:11], v[206:207]
	v_add_f64 v[18:19], v[208:209], v[18:19]
	v_mul_f64 v[208:209], v[203:204], s[28:29]
	v_add_f64 v[6:7], v[184:185], v[6:7]
	v_fma_f64 v[184:185], v[194:195], s[10:11], -v[208:209]
	v_fma_f64 v[214:215], v[194:195], s[10:11], v[208:209]
	v_add_f64 v[184:185], v[184:185], v[4:5]
	v_fma_f64 v[4:5], v[212:213], s[18:19], v[220:221]
	v_add_f64 v[214:215], v[214:215], v[16:17]
	v_fma_f64 v[16:17], v[212:213], s[18:19], -v[220:221]
	v_add_f64 v[4:5], v[4:5], v[6:7]
	v_add_f64 v[6:7], v[186:187], v[184:185]
	v_mul_f64 v[184:185], v[156:157], s[38:39]
	v_add_f64 v[16:17], v[16:17], v[18:19]
	v_fma_f64 v[18:19], v[218:219], s[18:19], v[222:223]
	v_fma_f64 v[186:187], v[148:149], s[18:19], -v[184:185]
	v_fma_f64 v[184:185], v[148:149], s[18:19], v[184:185]
	v_add_f64 v[18:19], v[18:19], v[214:215]
	v_add_f64 v[34:35], v[186:187], v[34:35]
	v_mul_f64 v[186:187], v[158:159], s[38:39]
	v_add_f64 v[122:123], v[184:185], v[122:123]
	v_fma_f64 v[188:189], v[150:151], s[18:19], v[186:187]
	v_fma_f64 v[184:185], v[150:151], s[18:19], -v[186:187]
	v_add_f64 v[32:33], v[188:189], v[32:33]
	v_mul_f64 v[188:189], v[172:173], s[22:23]
	v_add_f64 v[120:121], v[184:185], v[120:121]
	v_fma_f64 v[190:191], v[164:165], s[16:17], -v[188:189]
	v_fma_f64 v[184:185], v[164:165], s[16:17], v[188:189]
	v_add_f64 v[34:35], v[190:191], v[34:35]
	v_mul_f64 v[190:191], v[174:175], s[22:23]
	v_add_f64 v[122:123], v[184:185], v[122:123]
	v_fma_f64 v[196:197], v[170:171], s[16:17], v[190:191]
	v_fma_f64 v[184:185], v[170:171], s[16:17], -v[190:191]
	v_add_f64 v[32:33], v[196:197], v[32:33]
	v_mul_f64 v[196:197], v[180:181], s[30:31]
	v_add_f64 v[120:121], v[184:185], v[120:121]
	v_fma_f64 v[198:199], v[176:177], s[0:1], -v[196:197]
	v_fma_f64 v[184:185], v[176:177], s[0:1], v[196:197]
	v_add_f64 v[34:35], v[198:199], v[34:35]
	v_mul_f64 v[198:199], v[182:183], s[30:31]
	v_add_f64 v[122:123], v[184:185], v[122:123]
	s_mov_b32 s31, 0x3fea55e2
	s_mov_b32 s30, s28
	v_mul_f64 v[220:221], v[210:211], s[30:31]
	v_mul_f64 v[222:223], v[216:217], s[30:31]
	v_fma_f64 v[206:207], v[178:179], s[0:1], v[198:199]
	v_fma_f64 v[184:185], v[178:179], s[0:1], -v[198:199]
	v_fma_f64 v[186:187], v[218:219], s[10:11], -v[222:223]
	v_add_f64 v[32:33], v[206:207], v[32:33]
	v_mul_f64 v[206:207], v[201:202], s[34:35]
	v_add_f64 v[120:121], v[184:185], v[120:121]
	v_fma_f64 v[208:209], v[192:193], s[26:27], -v[206:207]
	v_fma_f64 v[184:185], v[192:193], s[26:27], v[206:207]
	v_add_f64 v[34:35], v[208:209], v[34:35]
	v_mul_f64 v[208:209], v[203:204], s[34:35]
	v_add_f64 v[122:123], v[184:185], v[122:123]
	v_fma_f64 v[184:185], v[194:195], s[26:27], -v[208:209]
	v_fma_f64 v[214:215], v[194:195], s[26:27], v[208:209]
	v_add_f64 v[184:185], v[184:185], v[120:121]
	v_fma_f64 v[120:121], v[212:213], s[10:11], v[220:221]
	v_add_f64 v[214:215], v[214:215], v[32:33]
	v_fma_f64 v[32:33], v[212:213], s[10:11], -v[220:221]
	v_mul_f64 v[220:221], v[210:211], s[20:21]
	v_add_f64 v[120:121], v[120:121], v[122:123]
	v_add_f64 v[122:123], v[186:187], v[184:185]
	v_mul_f64 v[184:185], v[156:157], s[36:37]
	v_add_f64 v[32:33], v[32:33], v[34:35]
	v_fma_f64 v[34:35], v[218:219], s[10:11], v[222:223]
	v_mul_f64 v[222:223], v[216:217], s[20:21]
	v_mul_f64 v[156:157], v[156:157], s[22:23]
	v_fma_f64 v[186:187], v[148:149], s[0:1], -v[184:185]
	v_fma_f64 v[184:185], v[148:149], s[0:1], v[184:185]
	v_add_f64 v[34:35], v[34:35], v[214:215]
	v_add_f64 v[168:169], v[186:187], v[168:169]
	v_mul_f64 v[186:187], v[158:159], s[36:37]
	v_add_f64 v[162:163], v[184:185], v[162:163]
	v_mul_f64 v[158:159], v[158:159], s[22:23]
	v_fma_f64 v[188:189], v[150:151], s[0:1], v[186:187]
	v_fma_f64 v[184:185], v[150:151], s[0:1], -v[186:187]
	v_fma_f64 v[186:187], v[218:219], s[8:9], -v[222:223]
	v_add_f64 v[166:167], v[188:189], v[166:167]
	v_mul_f64 v[188:189], v[172:173], s[28:29]
	v_add_f64 v[160:161], v[184:185], v[160:161]
	v_mul_f64 v[172:173], v[172:173], s[24:25]
	v_fma_f64 v[190:191], v[164:165], s[10:11], -v[188:189]
	v_fma_f64 v[184:185], v[164:165], s[10:11], v[188:189]
	v_add_f64 v[168:169], v[190:191], v[168:169]
	v_mul_f64 v[190:191], v[174:175], s[28:29]
	v_add_f64 v[162:163], v[184:185], v[162:163]
	v_mul_f64 v[174:175], v[174:175], s[24:25]
	v_fma_f64 v[196:197], v[170:171], s[10:11], v[190:191]
	v_fma_f64 v[184:185], v[170:171], s[10:11], -v[190:191]
	v_mul_f64 v[190:191], v[210:211], s[36:37]
	v_add_f64 v[166:167], v[196:197], v[166:167]
	v_mul_f64 v[196:197], v[180:181], s[34:35]
	v_add_f64 v[160:161], v[184:185], v[160:161]
	v_mul_f64 v[180:181], v[180:181], s[30:31]
	v_fma_f64 v[198:199], v[176:177], s[26:27], -v[196:197]
	v_fma_f64 v[184:185], v[176:177], s[26:27], v[196:197]
	v_mul_f64 v[196:197], v[216:217], s[36:37]
	v_add_f64 v[168:169], v[198:199], v[168:169]
	v_mul_f64 v[198:199], v[182:183], s[34:35]
	v_add_f64 v[162:163], v[184:185], v[162:163]
	v_mul_f64 v[182:183], v[182:183], s[30:31]
	v_fma_f64 v[206:207], v[178:179], s[26:27], v[198:199]
	v_fma_f64 v[184:185], v[178:179], s[26:27], -v[198:199]
	v_add_f64 v[166:167], v[206:207], v[166:167]
	v_mul_f64 v[206:207], v[201:202], s[22:23]
	v_add_f64 v[160:161], v[184:185], v[160:161]
	v_fma_f64 v[208:209], v[192:193], s[16:17], -v[206:207]
	v_fma_f64 v[184:185], v[192:193], s[16:17], v[206:207]
	v_add_f64 v[168:169], v[208:209], v[168:169]
	v_mul_f64 v[208:209], v[203:204], s[22:23]
	v_add_f64 v[162:163], v[184:185], v[162:163]
	v_fma_f64 v[184:185], v[194:195], s[16:17], -v[208:209]
	v_fma_f64 v[214:215], v[194:195], s[16:17], v[208:209]
	v_add_f64 v[184:185], v[184:185], v[160:161]
	v_fma_f64 v[160:161], v[212:213], s[8:9], v[220:221]
	v_add_f64 v[214:215], v[214:215], v[166:167]
	v_fma_f64 v[166:167], v[212:213], s[8:9], -v[220:221]
	v_add_f64 v[160:161], v[160:161], v[162:163]
	v_add_f64 v[162:163], v[186:187], v[184:185]
	v_fma_f64 v[184:185], v[148:149], s[16:17], -v[156:157]
	v_fma_f64 v[148:149], v[148:149], s[16:17], v[156:157]
	v_fma_f64 v[156:157], v[164:165], s[18:19], v[172:173]
	v_add_f64 v[166:167], v[166:167], v[168:169]
	v_fma_f64 v[168:169], v[218:219], s[8:9], v[222:223]
	v_add_f64 v[154:155], v[184:185], v[154:155]
	v_fma_f64 v[184:185], v[150:151], s[16:17], v[158:159]
	v_fma_f64 v[150:151], v[150:151], s[16:17], -v[158:159]
	v_fma_f64 v[158:159], v[170:171], s[18:19], -v[174:175]
	v_add_f64 v[146:147], v[148:149], v[146:147]
	v_fma_f64 v[148:149], v[176:177], s[10:11], v[180:181]
	v_add_f64 v[168:169], v[168:169], v[214:215]
	v_add_f64 v[152:153], v[184:185], v[152:153]
	v_fma_f64 v[184:185], v[164:165], s[18:19], -v[172:173]
	v_add_f64 v[144:145], v[150:151], v[144:145]
	v_fma_f64 v[150:151], v[178:179], s[10:11], -v[182:183]
	v_add_f64 v[146:147], v[156:157], v[146:147]
	v_add_f64 v[154:155], v[184:185], v[154:155]
	v_fma_f64 v[184:185], v[170:171], s[18:19], v[174:175]
	v_add_f64 v[144:145], v[158:159], v[144:145]
	v_add_f64 v[146:147], v[148:149], v[146:147]
	v_fma_f64 v[148:149], v[212:213], s[0:1], v[190:191]
	v_add_f64 v[152:153], v[184:185], v[152:153]
	v_fma_f64 v[184:185], v[176:177], s[10:11], -v[180:181]
	v_add_f64 v[144:145], v[150:151], v[144:145]
	v_fma_f64 v[150:151], v[218:219], s[0:1], -v[196:197]
	v_add_f64 v[154:155], v[184:185], v[154:155]
	v_fma_f64 v[184:185], v[178:179], s[10:11], v[182:183]
	v_add_f64 v[152:153], v[184:185], v[152:153]
	v_mul_f64 v[184:185], v[201:202], s[20:21]
	v_fma_f64 v[186:187], v[192:193], s[8:9], -v[184:185]
	v_fma_f64 v[156:157], v[192:193], s[8:9], v[184:185]
	v_add_f64 v[154:155], v[186:187], v[154:155]
	v_mul_f64 v[186:187], v[203:204], s[20:21]
	v_add_f64 v[146:147], v[156:157], v[146:147]
	v_fma_f64 v[188:189], v[194:195], s[8:9], v[186:187]
	v_fma_f64 v[158:159], v[194:195], s[8:9], -v[186:187]
	v_add_f64 v[188:189], v[188:189], v[152:153]
	v_fma_f64 v[152:153], v[212:213], s[0:1], -v[190:191]
	v_add_f64 v[156:157], v[158:159], v[144:145]
	v_add_f64 v[144:145], v[148:149], v[146:147]
	;; [unrolled: 1-line block ×3, first 2 shown]
	v_fma_f64 v[154:155], v[218:219], s[0:1], v[196:197]
	v_add_f64 v[146:147], v[150:151], v[156:157]
	v_cmp_gt_u16_e64 s0, 0x44, v224
	v_add_f64 v[154:155], v[154:155], v[188:189]
	ds_write_b128 v200, v[0:3] offset:272
	ds_write_b128 v200, v[12:15] offset:544
	;; [unrolled: 1-line block ×8, first 2 shown]
	ds_write_b128 v200, v[36:39]
	ds_write_b128 v200, v[120:123] offset:2448
	ds_write_b128 v200, v[4:7] offset:2720
	;; [unrolled: 1-line block ×4, first 2 shown]
	s_waitcnt lgkmcnt(0)
	s_barrier
	buffer_gl0_inv
	ds_read_b128 v[124:127], v255
	ds_read_b128 v[148:151], v255 offset:3536
	ds_read_b128 v[144:147], v255 offset:7072
	;; [unrolled: 1-line block ×8, first 2 shown]
                                        ; implicit-def: $vgpr152_vgpr153
	s_and_saveexec_b32 s1, s0
	s_cbranch_execz .LBB0_9
; %bb.8:
	ds_read_b128 v[120:123], v255 offset:2448
	ds_read_b128 v[4:7], v255 offset:5984
	;; [unrolled: 1-line block ×9, first 2 shown]
.LBB0_9:
	s_or_b32 exec_lo, exec_lo, s1
	buffer_load_dword v38, off, s[60:63], 0 ; 4-byte Folded Reload
	s_mov_b32 s20, 0x7e0b738b
	s_mov_b32 s21, 0x3fc63a1a
	;; [unrolled: 1-line block ×9, first 2 shown]
	s_waitcnt vmcnt(0)
	v_lshlrev_b32_e32 v0, 7, v38
	v_add_co_u32 v36, s1, s2, v0
	v_add_co_ci_u32_e64 v37, null, s3, 0, s1
	v_add_co_u32 v0, s1, 0x800, v36
	v_add_co_ci_u32_e64 v1, s1, 0, v37, s1
	v_add_co_u32 v2, s1, 0xcc0, v36
	v_add_co_ci_u32_e64 v3, s1, 0, v37, s1
	s_clause 0x3
	global_load_dwordx4 v[44:47], v[0:1], off offset:1216
	global_load_dwordx4 v[40:43], v[2:3], off offset:16
	;; [unrolled: 1-line block ×4, first 2 shown]
	v_add_co_u32 v2, s1, 0xd00, v36
	v_add_co_ci_u32_e64 v3, s1, 0, v37, s1
	s_clause 0x1
	global_load_dwordx4 v[52:55], v[0:1], off offset:1280
	global_load_dwordx4 v[56:59], v[2:3], off offset:48
	v_add_co_u32 v0, s1, 0x99, v38
	v_add_co_ci_u32_e64 v1, null, 0, 0, s1
	v_add_co_u32 v156, s1, 0xffffffbc, v38
	v_add_co_ci_u32_e64 v157, null, 0, -1, s1
	global_load_dwordx4 v[60:63], v[2:3], off offset:32
	v_cndmask_b32_e64 v0, v156, v0, s0
	global_load_dwordx4 v[36:39], v[2:3], off offset:16
	v_cndmask_b32_e64 v1, v157, v1, s0
	v_lshlrev_b64 v[0:1], 7, v[0:1]
	v_add_co_u32 v164, s1, s2, v0
	v_add_co_ci_u32_e64 v165, s1, s3, v1, s1
	s_mov_b32 s2, 0xa2cf5039
	v_add_co_u32 v0, s1, 0x800, v164
	v_add_co_ci_u32_e64 v1, s1, 0, v165, s1
	s_mov_b32 s3, 0x3fe8836f
	global_load_dwordx4 v[166:169], v[0:1], off offset:1216
	s_waitcnt vmcnt(8) lgkmcnt(7)
	v_mul_f64 v[2:3], v[150:151], v[46:47]
	v_mul_f64 v[156:157], v[148:149], v[46:47]
	s_waitcnt vmcnt(7) lgkmcnt(6)
	v_mul_f64 v[158:159], v[146:147], v[42:43]
	v_mul_f64 v[160:161], v[144:145], v[42:43]
	s_waitcnt vmcnt(6) lgkmcnt(5)
	v_mul_f64 v[162:163], v[142:143], v[34:35]
	v_fma_f64 v[2:3], v[148:149], v[44:45], -v[2:3]
	v_fma_f64 v[148:149], v[150:151], v[44:45], v[156:157]
	v_mul_f64 v[150:151], v[140:141], v[34:35]
	s_waitcnt vmcnt(5) lgkmcnt(4)
	v_mul_f64 v[156:157], v[138:139], v[50:51]
	v_fma_f64 v[144:145], v[144:145], v[40:41], -v[158:159]
	v_fma_f64 v[146:147], v[146:147], v[40:41], v[160:161]
	v_mul_f64 v[158:159], v[136:137], v[50:51]
	s_waitcnt vmcnt(4) lgkmcnt(3)
	v_mul_f64 v[160:161], v[134:135], v[54:55]
	v_fma_f64 v[140:141], v[140:141], v[32:33], -v[162:163]
	s_waitcnt vmcnt(3) lgkmcnt(0)
	v_mul_f64 v[162:163], v[130:131], v[58:59]
	v_fma_f64 v[142:143], v[142:143], v[32:33], v[150:151]
	v_mul_f64 v[150:151], v[132:133], v[54:55]
	v_fma_f64 v[136:137], v[136:137], v[48:49], -v[156:157]
	v_mul_f64 v[156:157], v[128:129], v[58:59]
	v_fma_f64 v[138:139], v[138:139], v[48:49], v[158:159]
	s_waitcnt vmcnt(2)
	v_mul_f64 v[158:159], v[14:15], v[62:63]
	v_fma_f64 v[132:133], v[132:133], v[52:53], -v[160:161]
	v_fma_f64 v[128:129], v[128:129], v[56:57], -v[162:163]
	v_add_co_u32 v162, s1, 0xcc0, v164
	v_add_co_ci_u32_e64 v163, s1, 0, v165, s1
	s_waitcnt vmcnt(1)
	v_mul_f64 v[160:161], v[18:19], v[38:39]
	global_load_dwordx4 v[170:173], v[162:163], off offset:48
	v_fma_f64 v[134:135], v[134:135], v[52:53], v[150:151]
	v_mul_f64 v[150:151], v[12:13], v[62:63]
	v_fma_f64 v[130:131], v[130:131], v[56:57], v[156:157]
	v_mul_f64 v[156:157], v[16:17], v[38:39]
	v_fma_f64 v[12:13], v[12:13], v[60:61], -v[158:159]
	v_fma_f64 v[16:17], v[16:17], v[36:37], -v[160:161]
	v_fma_f64 v[14:15], v[14:15], v[60:61], v[150:151]
	s_waitcnt vmcnt(1)
	v_mul_f64 v[150:151], v[6:7], v[168:169]
	v_fma_f64 v[18:19], v[18:19], v[36:37], v[156:157]
	v_mul_f64 v[156:157], v[4:5], v[168:169]
	v_fma_f64 v[4:5], v[4:5], v[166:167], -v[150:151]
	buffer_store_dword v166, off, s[60:63], 0 offset:28 ; 4-byte Folded Spill
	buffer_store_dword v167, off, s[60:63], 0 offset:32 ; 4-byte Folded Spill
	;; [unrolled: 1-line block ×4, first 2 shown]
	v_fma_f64 v[6:7], v[6:7], v[166:167], v[156:157]
	s_clause 0x1
	global_load_dwordx4 v[166:169], v[162:163], off offset:16
	global_load_dwordx4 v[156:159], v[162:163], off offset:32
	s_waitcnt vmcnt(1)
	v_mul_f64 v[150:151], v[30:31], v[168:169]
	v_fma_f64 v[150:151], v[28:29], v[166:167], -v[150:151]
	v_mul_f64 v[28:29], v[28:29], v[168:169]
	buffer_store_dword v166, off, s[60:63], 0 offset:92 ; 4-byte Folded Spill
	buffer_store_dword v167, off, s[60:63], 0 offset:96 ; 4-byte Folded Spill
	;; [unrolled: 1-line block ×4, first 2 shown]
	v_fma_f64 v[28:29], v[30:31], v[166:167], v[28:29]
	s_waitcnt vmcnt(0)
	v_mul_f64 v[30:31], v[22:23], v[158:159]
	v_fma_f64 v[30:31], v[20:21], v[156:157], -v[30:31]
	v_mul_f64 v[20:21], v[20:21], v[158:159]
	buffer_store_dword v156, off, s[60:63], 0 offset:44 ; 4-byte Folded Spill
	buffer_store_dword v157, off, s[60:63], 0 offset:48 ; 4-byte Folded Spill
	;; [unrolled: 1-line block ×4, first 2 shown]
	v_fma_f64 v[20:21], v[22:23], v[156:157], v[20:21]
	v_mul_f64 v[22:23], v[10:11], v[172:173]
	v_fma_f64 v[22:23], v[8:9], v[170:171], -v[22:23]
	v_mul_f64 v[8:9], v[8:9], v[172:173]
	buffer_store_dword v170, off, s[60:63], 0 offset:76 ; 4-byte Folded Spill
	buffer_store_dword v171, off, s[60:63], 0 offset:80 ; 4-byte Folded Spill
	;; [unrolled: 1-line block ×4, first 2 shown]
	v_fma_f64 v[8:9], v[10:11], v[170:171], v[8:9]
	v_add_co_u32 v10, s1, 0xd00, v164
	v_add_co_ci_u32_e64 v11, s1, 0, v165, s1
	s_clause 0x1
	global_load_dwordx4 v[160:163], v[0:1], off offset:1280
	global_load_dwordx4 v[156:159], v[10:11], off offset:16
	s_waitcnt vmcnt(1)
	v_mul_f64 v[0:1], v[26:27], v[162:163]
	v_fma_f64 v[0:1], v[24:25], v[160:161], -v[0:1]
	v_mul_f64 v[24:25], v[24:25], v[162:163]
	buffer_store_dword v160, off, s[60:63], 0 offset:108 ; 4-byte Folded Spill
	buffer_store_dword v161, off, s[60:63], 0 offset:112 ; 4-byte Folded Spill
	;; [unrolled: 1-line block ×4, first 2 shown]
	v_add_f64 v[170:171], v[22:23], -v[0:1]
	v_fma_f64 v[24:25], v[26:27], v[160:161], v[24:25]
	s_clause 0x1
	global_load_dwordx4 v[160:163], v[10:11], off offset:48
	global_load_dwordx4 v[164:167], v[10:11], off offset:32
	v_add_f64 v[174:175], v[8:9], v[24:25]
	v_fma_f64 v[186:187], v[174:175], s[2:3], v[122:123]
	s_waitcnt vmcnt(1)
	v_mul_f64 v[10:11], v[154:155], v[162:163]
	v_mul_f64 v[26:27], v[152:153], v[162:163]
	v_fma_f64 v[10:11], v[152:153], v[160:161], -v[10:11]
	s_waitcnt vmcnt(0)
	v_mul_f64 v[152:153], v[98:99], v[166:167]
	buffer_store_dword v160, off, s[60:63], 0 offset:124 ; 4-byte Folded Spill
	buffer_store_dword v161, off, s[60:63], 0 offset:128 ; 4-byte Folded Spill
	;; [unrolled: 1-line block ×4, first 2 shown]
	v_add_f64 v[162:163], v[136:137], -v[132:133]
	v_fma_f64 v[152:153], v[96:97], v[164:165], -v[152:153]
	v_mul_f64 v[96:97], v[96:97], v[166:167]
	buffer_store_dword v164, off, s[60:63], 0 offset:140 ; 4-byte Folded Spill
	buffer_store_dword v165, off, s[60:63], 0 offset:144 ; 4-byte Folded Spill
	;; [unrolled: 1-line block ×4, first 2 shown]
	v_add_f64 v[166:167], v[138:139], -v[134:135]
	v_mul_f64 v[192:193], v[162:163], s[10:11]
	v_mul_f64 v[194:195], v[166:167], s[16:17]
	;; [unrolled: 1-line block ×3, first 2 shown]
	v_fma_f64 v[26:27], v[154:155], v[160:161], v[26:27]
	v_fma_f64 v[96:97], v[98:99], v[164:165], v[96:97]
	v_mul_f64 v[98:99], v[118:119], v[158:159]
	v_add_f64 v[160:161], v[28:29], v[96:97]
	v_fma_f64 v[98:99], v[116:117], v[156:157], -v[98:99]
	v_mul_f64 v[116:117], v[116:117], v[158:159]
	buffer_store_dword v156, off, s[60:63], 0 offset:60 ; 4-byte Folded Spill
	buffer_store_dword v157, off, s[60:63], 0 offset:64 ; 4-byte Folded Spill
	;; [unrolled: 1-line block ×4, first 2 shown]
	v_add_f64 v[28:29], v[28:29], -v[96:97]
	v_add_f64 v[158:159], v[150:151], -v[152:153]
	v_add_f64 v[96:97], v[30:31], v[98:99]
	v_add_f64 v[30:31], v[30:31], -v[98:99]
	v_add_f64 v[188:189], v[120:121], v[96:97]
	v_fma_f64 v[116:117], v[118:119], v[156:157], v[116:117]
	v_add_f64 v[118:119], v[2:3], v[128:129]
	v_add_f64 v[156:157], v[144:145], v[12:13]
	v_add_f64 v[12:13], v[144:145], -v[12:13]
	v_add_f64 v[144:145], v[146:147], v[14:15]
	v_add_f64 v[14:15], v[146:147], -v[14:15]
	;; [unrolled: 2-line block ×4, first 2 shown]
	v_add_f64 v[16:17], v[140:141], -v[16:17]
	v_add_f64 v[140:141], v[142:143], v[18:19]
	v_add_f64 v[18:19], v[142:143], -v[18:19]
	v_add_f64 v[142:143], v[4:5], v[10:11]
	;; [unrolled: 2-line block ×4, first 2 shown]
	v_add_f64 v[98:99], v[20:21], v[116:117]
	v_add_f64 v[20:21], v[20:21], -v[116:117]
	v_add_f64 v[116:117], v[156:157], v[118:119]
	v_fma_f64 v[192:193], v[12:13], s[16:17], -v[192:193]
	v_fma_f64 v[196:197], v[14:15], s[16:17], -v[196:197]
	v_add_f64 v[178:179], v[124:125], v[146:147]
	v_add_f64 v[164:165], v[144:145], v[128:129]
	v_fma_f64 v[194:195], v[130:131], s[10:11], v[194:195]
	v_add_f64 v[180:181], v[126:127], v[140:141]
	v_add_f64 v[172:173], v[160:161], v[10:11]
	v_fma_f64 v[182:183], v[10:11], s[2:3], v[122:123]
	v_add_f64 v[168:169], v[26:27], v[142:143]
	v_add_f64 v[190:191], v[122:123], v[98:99]
	;; [unrolled: 1-line block ×10, first 2 shown]
	v_fma_f64 v[116:117], v[116:117], -0.5, v[178:179]
	v_add_f64 v[134:135], v[134:135], v[148:149]
	v_add_f64 v[148:149], v[96:97], v[168:169]
	v_fma_f64 v[176:177], v[138:139], s[2:3], v[126:127]
	v_add_f64 v[164:165], v[138:139], v[164:165]
	v_add_f64 v[150:151], v[126:127], v[134:135]
	;; [unrolled: 1-line block ×4, first 2 shown]
	v_fma_f64 v[134:135], v[136:137], s[2:3], v[124:125]
	v_fma_f64 v[178:179], v[164:165], -0.5, v[180:181]
	v_mul_f64 v[164:165], v[2:3], s[8:9]
	v_mul_f64 v[180:181], v[162:163], s[16:17]
	v_add_f64 v[0:1], v[0:1], v[148:149]
	v_add_f64 v[148:149], v[98:99], v[172:173]
	v_fma_f64 v[134:135], v[118:119], s[20:21], v[134:135]
	v_fma_f64 v[184:185], v[22:23], s[2:3], v[120:121]
	;; [unrolled: 1-line block ×4, first 2 shown]
	v_add_f64 v[152:153], v[120:121], v[0:1]
	v_add_f64 v[148:149], v[8:9], v[148:149]
	v_add_f64 v[8:9], v[8:9], -v[24:25]
	v_fma_f64 v[134:135], v[146:147], -0.5, v[134:135]
	v_fma_f64 v[0:1], v[142:143], s[2:3], v[120:121]
	v_fma_f64 v[120:121], v[26:27], s[2:3], v[120:121]
	;; [unrolled: 1-line block ×3, first 2 shown]
	v_add_f64 v[154:155], v[24:25], v[148:149]
	v_add_f64 v[148:149], v[124:125], v[132:133]
	v_fma_f64 v[24:25], v[118:119], s[2:3], v[124:125]
	v_fma_f64 v[124:125], v[156:157], s[2:3], v[124:125]
	;; [unrolled: 1-line block ×6, first 2 shown]
	v_fma_f64 v[184:185], v[96:97], -0.5, v[184:185]
	v_add_f64 v[154:155], v[122:123], v[154:155]
	v_fma_f64 v[122:123], v[160:161], s[2:3], v[122:123]
	v_fma_f64 v[24:25], v[156:157], s[20:21], v[24:25]
	;; [unrolled: 1-line block ×5, first 2 shown]
	s_mov_b32 s2, 0xe8584cab
	s_mov_b32 s3, 0x3febb67a
	;; [unrolled: 1-line block ×3, first 2 shown]
	v_fma_f64 v[164:165], v[16:17], s[2:3], v[164:165]
	v_fma_f64 v[180:181], v[16:17], s[18:19], v[180:181]
	;; [unrolled: 1-line block ×3, first 2 shown]
	v_mul_f64 v[192:193], v[130:131], s[8:9]
	v_fma_f64 v[194:195], v[18:19], s[18:19], v[194:195]
	v_fma_f64 v[0:1], v[96:97], -0.5, v[0:1]
	v_fma_f64 v[96:97], v[96:97], -0.5, v[120:121]
	v_fma_f64 v[120:121], v[160:161], s[20:21], v[182:183]
	v_fma_f64 v[182:183], v[10:11], s[20:21], v[186:187]
	;; [unrolled: 1-line block ×3, first 2 shown]
	v_fma_f64 v[24:25], v[146:147], -0.5, v[24:25]
	v_fma_f64 v[124:125], v[146:147], -0.5, v[124:125]
	v_fma_f64 v[146:147], v[128:129], s[20:21], v[176:177]
	v_fma_f64 v[132:133], v[140:141], -0.5, v[132:133]
	v_fma_f64 v[126:127], v[140:141], -0.5, v[126:127]
	v_mul_f64 v[176:177], v[170:171], s[16:17]
	v_fma_f64 v[192:193], v[14:15], s[10:11], v[192:193]
	v_fma_f64 v[120:121], v[98:99], -0.5, v[120:121]
	v_fma_f64 v[182:183], v[98:99], -0.5, v[182:183]
	;; [unrolled: 1-line block ×4, first 2 shown]
	v_add_f64 v[140:141], v[22:23], v[168:169]
	v_add_f64 v[168:169], v[174:175], v[172:173]
	v_mul_f64 v[172:173], v[4:5], s[8:9]
	v_fma_f64 v[176:177], v[4:5], s[10:11], v[176:177]
	v_fma_f64 v[192:193], v[18:19], s[2:3], v[192:193]
	;; [unrolled: 1-line block ×3, first 2 shown]
	v_mul_f64 v[196:197], v[8:9], s[10:11]
	v_fma_f64 v[140:141], v[140:141], -0.5, v[188:189]
	v_mul_f64 v[188:189], v[170:171], s[10:11]
	v_fma_f64 v[172:173], v[158:159], s[10:11], v[172:173]
	v_fma_f64 v[176:177], v[30:31], s[18:19], v[176:177]
	v_fma_f64 v[168:169], v[168:169], -0.5, v[190:191]
	v_mul_f64 v[190:191], v[8:9], s[16:17]
	v_fma_f64 v[196:197], v[28:29], s[16:17], -v[196:197]
	v_fma_f64 v[188:189], v[158:159], s[16:17], -v[188:189]
	v_fma_f64 v[172:173], v[30:31], s[2:3], v[172:173]
	v_fma_f64 v[190:191], v[6:7], s[10:11], v[190:191]
	;; [unrolled: 1-line block ×3, first 2 shown]
	v_mul_f64 v[188:189], v[6:7], s[8:9]
	s_mov_b32 s8, 0x42522d1b
	s_mov_b32 s9, 0xbfee11f6
	v_fma_f64 v[190:191], v[20:21], s[18:19], v[190:191]
	v_fma_f64 v[122:123], v[138:139], s[8:9], v[132:133]
	v_add_f64 v[138:139], v[166:167], v[130:131]
	v_fma_f64 v[24:25], v[136:137], s[8:9], v[24:25]
	v_add_f64 v[136:137], v[162:163], v[2:3]
	v_fma_f64 v[0:1], v[22:23], s[8:9], v[0:1]
	v_fma_f64 v[22:23], v[174:175], s[8:9], v[120:121]
	v_add_f64 v[120:121], v[170:171], v[4:5]
	v_fma_f64 v[134:135], v[156:157], s[8:9], v[134:135]
	v_fma_f64 v[144:145], v[144:145], s[8:9], v[146:147]
	;; [unrolled: 1-line block ×5, first 2 shown]
	s_mov_b32 s10, 0x748a0bf8
	s_mov_b32 s11, 0x3fd5e3a8
	v_fma_f64 v[2:3], v[2:3], s[10:11], v[16:17]
	v_add_f64 v[138:139], v[138:139], -v[14:15]
	v_fma_f64 v[16:17], v[130:131], s[10:11], v[18:19]
	v_fma_f64 v[18:19], v[118:119], s[8:9], v[124:125]
	;; [unrolled: 1-line block ×4, first 2 shown]
	v_add_f64 v[136:137], v[136:137], -v[12:13]
	v_fma_f64 v[12:13], v[12:13], s[10:11], v[180:181]
	v_fma_f64 v[192:193], v[166:167], s[10:11], v[192:193]
	;; [unrolled: 1-line block ×3, first 2 shown]
	v_add_f64 v[120:121], v[120:121], -v[158:159]
	v_fma_f64 v[124:125], v[158:159], s[10:11], v[176:177]
	v_fma_f64 v[128:129], v[160:161], s[8:9], v[182:183]
	;; [unrolled: 1-line block ×7, first 2 shown]
	v_add_f64 v[180:181], v[16:17], v[18:19]
	v_add_f64 v[182:183], v[118:119], -v[2:3]
	v_add_f64 v[170:171], v[122:123], -v[132:133]
	v_fma_f64 v[166:167], v[136:137], s[18:19], v[178:179]
	v_add_f64 v[174:175], v[144:145], -v[12:13]
	v_mul_f64 v[18:19], v[138:139], s[2:3]
	v_add_f64 v[172:173], v[14:15], v[134:135]
	v_fma_f64 v[158:159], v[120:121], s[18:19], v[168:169]
	v_add_f64 v[168:169], v[192:193], v[24:25]
	v_mul_f64 v[24:25], v[136:137], s[2:3]
	v_add_f64 v[162:163], v[128:129], -v[124:125]
	v_add_f64 v[146:147], v[10:11], -v[4:5]
	v_fma_f64 v[126:127], v[8:9], s[10:11], v[188:189]
	v_add_f64 v[8:9], v[8:9], v[6:7]
	v_fma_f64 v[6:7], v[6:7], s[10:11], v[20:21]
	v_fma_f64 v[20:21], v[142:143], s[8:9], v[96:97]
	v_add_f64 v[178:179], v[22:23], -v[116:117]
	v_fma_f64 v[188:189], v[16:17], -2.0, v[180:181]
	v_fma_f64 v[198:199], v[132:133], 2.0, v[170:171]
	v_fma_f64 v[194:195], v[12:13], 2.0, v[174:175]
	v_fma_f64 v[184:185], v[18:19], -2.0, v[164:165]
	v_fma_f64 v[196:197], v[192:193], -2.0, v[168:169]
	v_fma_f64 v[186:187], v[24:25], 2.0, v[166:167]
	v_fma_f64 v[192:193], v[14:15], -2.0, v[172:173]
	v_fma_f64 v[134:135], v[124:125], 2.0, v[162:163]
	v_fma_f64 v[142:143], v[4:5], 2.0, v[146:147]
	v_add_f64 v[176:177], v[126:127], v[0:1]
	v_add_f64 v[8:9], v[8:9], -v[28:29]
	v_fma_f64 v[28:29], v[28:29], s[10:11], v[190:191]
	v_add_f64 v[144:145], v[6:7], v[20:21]
	v_fma_f64 v[190:191], v[2:3], 2.0, v[182:183]
	v_fma_f64 v[2:3], v[116:117], 2.0, v[178:179]
	v_fma_f64 v[156:157], v[8:9], s[2:3], v[140:141]
	v_add_f64 v[160:161], v[28:29], v[26:27]
	v_mul_f64 v[0:1], v[8:9], s[2:3]
	v_mul_f64 v[8:9], v[120:121], s[2:3]
	v_fma_f64 v[140:141], v[6:7], -2.0, v[144:145]
	v_fma_f64 v[132:133], v[28:29], -2.0, v[160:161]
	;; [unrolled: 1-line block ×3, first 2 shown]
	v_fma_f64 v[138:139], v[8:9], 2.0, v[158:159]
	v_fma_f64 v[0:1], v[126:127], -2.0, v[176:177]
	buffer_store_dword v0, off, s[60:63], 0 offset:12 ; 4-byte Folded Spill
	buffer_store_dword v1, off, s[60:63], 0 offset:16 ; 4-byte Folded Spill
	;; [unrolled: 1-line block ×4, first 2 shown]
	ds_write_b128 v255, v[148:151]
	ds_write_b128 v255, v[168:171] offset:3536
	ds_write_b128 v255, v[172:175] offset:7072
	;; [unrolled: 1-line block ×8, first 2 shown]
	s_and_saveexec_b32 s1, s0
	s_cbranch_execz .LBB0_11
; %bb.10:
	ds_write_b128 v255, v[152:155] offset:2448
	ds_write_b128 v255, v[176:179] offset:5984
	;; [unrolled: 1-line block ×8, first 2 shown]
	s_clause 0x3
	buffer_load_dword v0, off, s[60:63], 0 offset:12
	buffer_load_dword v1, off, s[60:63], 0 offset:16
	;; [unrolled: 1-line block ×4, first 2 shown]
	s_waitcnt vmcnt(0)
	ds_write_b128 v255, v[0:3] offset:30736
.LBB0_11:
	s_or_b32 exec_lo, exec_lo, s1
	s_waitcnt lgkmcnt(0)
	s_waitcnt_vscnt null, 0x0
	s_barrier
	buffer_gl0_inv
	s_and_saveexec_b32 s2, vcc_lo
	s_cbranch_execz .LBB0_13
; %bb.12:
	v_add_co_u32 v0, s1, s12, v255
	v_add_co_ci_u32_e64 v1, null, s13, 0, s1
	v_add_co_u32 v2, s1, 0x7800, v0
	v_add_co_ci_u32_e64 v3, s1, 0, v1, s1
	v_add_co_u32 v6, s1, 0x7c50, v0
	v_add_co_ci_u32_e64 v7, s1, 0, v1, s1
	v_add_co_u32 v10, s1, 0x8800, v0
	s_clause 0x1
	global_load_dwordx4 v[2:5], v[2:3], off offset:1104
	global_load_dwordx4 v[6:9], v[6:7], off offset:1872
	v_add_co_ci_u32_e64 v11, s1, 0, v1, s1
	v_add_co_u32 v14, s1, 0x9000, v0
	v_add_co_ci_u32_e64 v15, s1, 0, v1, s1
	global_load_dwordx4 v[10:13], v[10:11], off offset:752
	v_add_co_u32 v18, s1, 0x9800, v0
	global_load_dwordx4 v[14:17], v[14:15], off offset:576
	v_add_co_ci_u32_e64 v19, s1, 0, v1, s1
	v_add_co_u32 v22, s1, 0xa000, v0
	v_add_co_ci_u32_e64 v23, s1, 0, v1, s1
	global_load_dwordx4 v[18:21], v[18:19], off offset:400
	v_add_co_u32 v30, s1, 0xa800, v0
	global_load_dwordx4 v[22:25], v[22:23], off offset:224
	v_add_co_ci_u32_e64 v31, s1, 0, v1, s1
	s_clause 0x1
	global_load_dwordx4 v[26:29], v[30:31], off offset:48
	global_load_dwordx4 v[96:99], v[30:31], off offset:1920
	v_add_co_u32 v30, s1, 0xb000, v0
	v_add_co_ci_u32_e64 v31, s1, 0, v1, s1
	global_load_dwordx4 v[201:204], v[30:31], off offset:1744
	v_add_co_u32 v30, s1, 0xb800, v0
	v_add_co_ci_u32_e64 v31, s1, 0, v1, s1
	global_load_dwordx4 v[205:208], v[30:31], off offset:1568
	ds_read_b128 v[116:119], v255
	ds_read_b128 v[120:123], v255 offset:1872
	v_add_co_u32 v30, s1, 0xc000, v0
	v_add_co_ci_u32_e64 v31, s1, 0, v1, s1
	ds_read_b128 v[124:127], v255 offset:3744
	ds_read_b128 v[213:216], v255 offset:7488
	;; [unrolled: 1-line block ×3, first 2 shown]
	global_load_dwordx4 v[209:212], v[30:31], off offset:1392
	ds_read_b128 v[221:224], v255 offset:29952
	s_waitcnt vmcnt(10) lgkmcnt(5)
	v_mul_f64 v[30:31], v[118:119], v[4:5]
	v_mul_f64 v[4:5], v[116:117], v[4:5]
	s_waitcnt vmcnt(9) lgkmcnt(4)
	v_mul_f64 v[128:129], v[122:123], v[8:9]
	v_mul_f64 v[8:9], v[120:121], v[8:9]
	v_fma_f64 v[116:117], v[116:117], v[2:3], -v[30:31]
	v_fma_f64 v[118:119], v[118:119], v[2:3], v[4:5]
	ds_read_b128 v[2:5], v255 offset:5616
	s_waitcnt vmcnt(8) lgkmcnt(4)
	v_mul_f64 v[30:31], v[126:127], v[12:13]
	v_mul_f64 v[12:13], v[124:125], v[12:13]
	v_fma_f64 v[120:121], v[120:121], v[6:7], -v[128:129]
	v_fma_f64 v[122:123], v[122:123], v[6:7], v[8:9]
	v_add_co_u32 v6, s1, 0xc800, v0
	v_add_co_ci_u32_e64 v7, s1, 0, v1, s1
	global_load_dwordx4 v[6:9], v[6:7], off offset:1216
	v_fma_f64 v[124:125], v[124:125], v[10:11], -v[30:31]
	v_fma_f64 v[126:127], v[126:127], v[10:11], v[12:13]
	s_waitcnt vmcnt(8) lgkmcnt(0)
	v_mul_f64 v[10:11], v[4:5], v[16:17]
	v_mul_f64 v[12:13], v[2:3], v[16:17]
	v_fma_f64 v[128:129], v[2:3], v[14:15], -v[10:11]
	v_fma_f64 v[130:131], v[4:5], v[14:15], v[12:13]
	ds_read_b128 v[2:5], v255 offset:9360
	v_add_co_u32 v10, s1, 0xd000, v0
	v_add_co_ci_u32_e64 v11, s1, 0, v1, s1
	s_waitcnt vmcnt(7)
	v_mul_f64 v[16:17], v[215:216], v[20:21]
	v_mul_f64 v[20:21], v[213:214], v[20:21]
	global_load_dwordx4 v[10:13], v[10:11], off offset:1040
	s_waitcnt vmcnt(7) lgkmcnt(0)
	v_mul_f64 v[30:31], v[4:5], v[24:25]
	v_mul_f64 v[24:25], v[2:3], v[24:25]
	v_fma_f64 v[14:15], v[213:214], v[18:19], -v[16:17]
	v_fma_f64 v[16:17], v[215:216], v[18:19], v[20:21]
	ds_read_b128 v[18:21], v255 offset:11232
	ds_read_b128 v[213:216], v255 offset:26208
	v_fma_f64 v[2:3], v[2:3], v[22:23], -v[30:31]
	v_fma_f64 v[4:5], v[4:5], v[22:23], v[24:25]
	v_add_co_u32 v22, s1, 0xd800, v0
	v_add_co_ci_u32_e64 v23, s1, 0, v1, s1
	s_waitcnt vmcnt(6) lgkmcnt(1)
	v_mul_f64 v[30:31], v[20:21], v[28:29]
	v_mul_f64 v[28:29], v[18:19], v[28:29]
	global_load_dwordx4 v[22:25], v[22:23], off offset:864
	v_fma_f64 v[18:19], v[18:19], v[26:27], -v[30:31]
	v_fma_f64 v[20:21], v[20:21], v[26:27], v[28:29]
	ds_read_b128 v[26:29], v255 offset:13104
	s_waitcnt vmcnt(6) lgkmcnt(0)
	v_mul_f64 v[30:31], v[28:29], v[98:99]
	v_mul_f64 v[98:99], v[26:27], v[98:99]
	v_fma_f64 v[26:27], v[26:27], v[96:97], -v[30:31]
	v_fma_f64 v[28:29], v[28:29], v[96:97], v[98:99]
	ds_read_b128 v[96:99], v255 offset:14976
	s_waitcnt vmcnt(5) lgkmcnt(0)
	v_mul_f64 v[30:31], v[98:99], v[203:204]
	v_mul_f64 v[203:204], v[96:97], v[203:204]
	;; [unrolled: 6-line block ×7, first 2 shown]
	v_fma_f64 v[10:11], v[10:11], v[22:23], -v[30:31]
	v_fma_f64 v[12:13], v[12:13], v[22:23], v[24:25]
	v_add_co_u32 v22, s1, 0xe000, v0
	v_add_co_ci_u32_e64 v23, s1, 0, v1, s1
	global_load_dwordx4 v[22:25], v[22:23], off offset:688
	s_waitcnt vmcnt(0)
	v_mul_f64 v[30:31], v[215:216], v[24:25]
	v_mul_f64 v[24:25], v[213:214], v[24:25]
	v_fma_f64 v[213:214], v[213:214], v[22:23], -v[30:31]
	v_fma_f64 v[215:216], v[215:216], v[22:23], v[24:25]
	v_add_co_u32 v22, s1, 0xe800, v0
	v_add_co_ci_u32_e64 v23, s1, 0, v1, s1
	v_add_co_u32 v0, s1, 0xf000, v0
	v_add_co_ci_u32_e64 v1, s1, 0, v1, s1
	global_load_dwordx4 v[22:25], v[22:23], off offset:512
	s_waitcnt vmcnt(0)
	v_mul_f64 v[30:31], v[219:220], v[24:25]
	v_mul_f64 v[24:25], v[217:218], v[24:25]
	v_fma_f64 v[217:218], v[217:218], v[22:23], -v[30:31]
	v_fma_f64 v[219:220], v[219:220], v[22:23], v[24:25]
	global_load_dwordx4 v[22:25], v[0:1], off offset:336
	s_waitcnt vmcnt(0)
	v_mul_f64 v[0:1], v[223:224], v[24:25]
	v_mul_f64 v[24:25], v[221:222], v[24:25]
	v_fma_f64 v[221:222], v[221:222], v[22:23], -v[0:1]
	v_fma_f64 v[223:224], v[223:224], v[22:23], v[24:25]
	ds_write_b128 v255, v[116:119]
	ds_write_b128 v255, v[120:123] offset:1872
	ds_write_b128 v255, v[124:127] offset:3744
	;; [unrolled: 1-line block ×16, first 2 shown]
.LBB0_13:
	s_or_b32 exec_lo, exec_lo, s2
	s_waitcnt lgkmcnt(0)
	s_barrier
	buffer_gl0_inv
	s_and_saveexec_b32 s1, vcc_lo
	s_cbranch_execz .LBB0_15
; %bb.14:
	ds_read_b128 v[148:151], v255
	ds_read_b128 v[168:171], v255 offset:1872
	ds_read_b128 v[172:175], v255 offset:3744
	;; [unrolled: 1-line block ×16, first 2 shown]
.LBB0_15:
	s_or_b32 exec_lo, exec_lo, s1
	s_waitcnt lgkmcnt(0)
	v_add_f64 v[223:224], v[170:171], -v[134:135]
	v_add_f64 v[0:1], v[170:171], v[134:135]
	s_mov_b32 s2, 0x5d8e7cdc
	s_mov_b32 s8, 0x370991
	s_mov_b32 s3, 0xbfd71e95
	s_mov_b32 s9, 0x3fedd6d0
	v_add_f64 v[213:214], v[174:175], -v[138:139]
	v_add_f64 v[225:226], v[174:175], v[138:139]
	s_mov_b32 s16, 0x2a9d6da3
	s_mov_b32 s10, 0x75d4884
	s_mov_b32 s17, 0xbfe58eea
	s_mov_b32 s11, 0x3fe7a5f6
	;; [unrolled: 6-line block ×3, first 2 shown]
	v_add_f64 v[235:236], v[182:183], -v[146:147]
	v_add_f64 v[229:230], v[182:183], v[146:147]
	s_mov_b32 s22, 0xeb564b22
	s_mov_b32 s24, 0x3259b75e
	v_mul_f64 v[2:3], v[223:224], s[2:3]
	v_mul_f64 v[6:7], v[0:1], s[8:9]
	s_mov_b32 s23, 0xbfefdd0d
	s_mov_b32 s25, 0x3fb79ee6
	v_add_f64 v[249:250], v[168:169], v[132:133]
	v_add_f64 v[4:5], v[168:169], -v[132:133]
	v_mul_f64 v[8:9], v[213:214], s[16:17]
	v_mul_f64 v[10:11], v[225:226], s[10:11]
	v_add_f64 v[201:202], v[172:173], v[136:137]
	v_add_f64 v[209:210], v[172:173], -v[136:137]
	v_add_f64 v[221:222], v[164:165], -v[140:141]
	;; [unrolled: 1-line block ×3, first 2 shown]
	v_mul_f64 v[12:13], v[219:220], s[20:21]
	v_mul_f64 v[14:15], v[215:216], s[18:19]
	v_add_f64 v[247:248], v[190:191], -v[158:159]
	s_mov_b32 s34, 0x923c349f
	s_mov_b32 s35, 0x3feec746
	;; [unrolled: 1-line block ×3, first 2 shown]
	v_mul_f64 v[16:17], v[235:236], s[22:23]
	v_mul_f64 v[18:19], v[229:230], s[24:25]
	s_mov_b32 s28, s34
	v_add_f64 v[205:206], v[164:165], v[140:141]
	buffer_store_dword v2, off, s[60:63], 0 offset:276 ; 4-byte Folded Spill
	buffer_store_dword v3, off, s[60:63], 0 offset:280 ; 4-byte Folded Spill
	;; [unrolled: 1-line block ×16, first 2 shown]
	v_add_f64 v[217:218], v[180:181], v[144:145]
	v_add_f64 v[237:238], v[188:189], v[156:157]
	s_mov_b32 s26, 0xc61f0d01
	s_mov_b32 s27, 0xbfd183b1
	v_add_f64 v[98:99], v[190:191], v[158:159]
	v_add_f64 v[245:246], v[188:189], -v[156:157]
	s_mov_b32 s36, 0x6c9a05f6
	s_mov_b32 s37, 0xbfe9895b
	v_add_f64 v[241:242], v[184:185], v[160:161]
	s_mov_b32 s30, 0x6ed5f1bb
	s_mov_b32 s31, 0xbfe348c8
	v_add_f64 v[243:244], v[186:187], v[162:163]
	v_add_f64 v[227:228], v[184:185], -v[160:161]
	v_add_f64 v[207:208], v[194:195], -v[178:179]
	s_mov_b32 s41, 0xbfe0d888
	s_mov_b32 s40, s46
	v_add_f64 v[253:254], v[192:193], v[176:177]
	s_mov_b32 s38, 0x910ea3b9
	s_mov_b32 s39, 0xbfeb34fa
	v_add_f64 v[96:97], v[194:195], v[178:179]
	v_add_f64 v[203:204], v[192:193], -v[176:177]
	;; [unrolled: 8-line block ×3, first 2 shown]
	v_mul_f64 v[30:31], v[223:224], s[16:17]
	s_mov_b32 s49, 0x3feca52d
	s_mov_b32 s48, s20
	;; [unrolled: 1-line block ×7, first 2 shown]
	v_mul_f64 v[26:27], v[215:216], s[26:27]
	s_mov_b32 s57, 0x3fe9895b
	s_mov_b32 s56, s36
	v_fma_f64 v[2:3], v[249:250], s[8:9], -v[2:3]
	v_fma_f64 v[6:7], v[4:5], s[2:3], v[6:7]
	v_fma_f64 v[8:9], v[201:202], s[10:11], -v[8:9]
	v_fma_f64 v[10:11], v[209:210], s[16:17], v[10:11]
	v_fma_f64 v[12:13], v[205:206], s[18:19], -v[12:13]
	v_add_f64 v[2:3], v[148:149], v[2:3]
	v_add_f64 v[6:7], v[150:151], v[6:7]
	;; [unrolled: 1-line block ×4, first 2 shown]
	v_fma_f64 v[8:9], v[221:222], s[20:21], v[14:15]
	v_fma_f64 v[10:11], v[217:218], s[24:25], -v[16:17]
	v_mul_f64 v[16:17], v[225:226], s[30:31]
	v_add_f64 v[2:3], v[12:13], v[2:3]
	v_mul_f64 v[12:13], v[225:226], s[24:25]
	v_add_f64 v[6:7], v[8:9], v[6:7]
	v_fma_f64 v[8:9], v[231:232], s[22:23], v[18:19]
	v_add_f64 v[2:3], v[10:11], v[2:3]
	v_add_f64 v[6:7], v[8:9], v[6:7]
	v_mul_f64 v[8:9], v[247:248], s[28:29]
	buffer_store_dword v8, off, s[60:63], 0 offset:204 ; 4-byte Folded Spill
	buffer_store_dword v9, off, s[60:63], 0 offset:208 ; 4-byte Folded Spill
	v_fma_f64 v[8:9], v[237:238], s[26:27], -v[8:9]
	v_add_f64 v[8:9], v[8:9], v[2:3]
	v_mul_f64 v[2:3], v[98:99], s[26:27]
	buffer_store_dword v2, off, s[60:63], 0 offset:220 ; 4-byte Folded Spill
	buffer_store_dword v3, off, s[60:63], 0 offset:224 ; 4-byte Folded Spill
	v_fma_f64 v[2:3], v[245:246], s[28:29], v[2:3]
	v_add_f64 v[6:7], v[2:3], v[6:7]
	v_add_f64 v[2:3], v[186:187], -v[162:163]
	v_mul_f64 v[10:11], v[2:3], s[36:37]
	buffer_store_dword v10, off, s[60:63], 0 offset:212 ; 4-byte Folded Spill
	buffer_store_dword v11, off, s[60:63], 0 offset:216 ; 4-byte Folded Spill
	v_fma_f64 v[10:11], v[241:242], s[30:31], -v[10:11]
	v_add_f64 v[8:9], v[10:11], v[8:9]
	v_mul_f64 v[10:11], v[243:244], s[30:31]
	buffer_store_dword v10, off, s[60:63], 0 offset:244 ; 4-byte Folded Spill
	buffer_store_dword v11, off, s[60:63], 0 offset:248 ; 4-byte Folded Spill
	v_fma_f64 v[10:11], v[227:228], s[36:37], v[10:11]
	v_add_f64 v[6:7], v[10:11], v[6:7]
	v_mul_f64 v[10:11], v[207:208], s[40:41]
	buffer_store_dword v10, off, s[60:63], 0 offset:228 ; 4-byte Folded Spill
	buffer_store_dword v11, off, s[60:63], 0 offset:232 ; 4-byte Folded Spill
	v_fma_f64 v[10:11], v[253:254], s[38:39], -v[10:11]
	v_add_f64 v[8:9], v[10:11], v[8:9]
	v_mul_f64 v[10:11], v[96:97], s[38:39]
	buffer_store_dword v10, off, s[60:63], 0 offset:252 ; 4-byte Folded Spill
	buffer_store_dword v11, off, s[60:63], 0 offset:256 ; 4-byte Folded Spill
	v_fma_f64 v[10:11], v[203:204], s[40:41], v[10:11]
	v_add_f64 v[6:7], v[10:11], v[6:7]
	;; [unrolled: 10-line block ×3, first 2 shown]
	v_mul_f64 v[8:9], v[213:214], s[22:23]
	v_fma_f64 v[6:7], v[249:250], s[10:11], -v[30:31]
	buffer_store_dword v8, off, s[60:63], 0 offset:372 ; 4-byte Folded Spill
	buffer_store_dword v9, off, s[60:63], 0 offset:376 ; 4-byte Folded Spill
	;; [unrolled: 1-line block ×4, first 2 shown]
	v_add_f64 v[6:7], v[148:149], v[6:7]
	v_fma_f64 v[8:9], v[201:202], s[24:25], -v[8:9]
	v_fma_f64 v[12:13], v[209:210], s[22:23], v[12:13]
	v_add_f64 v[6:7], v[8:9], v[6:7]
	v_mul_f64 v[8:9], v[0:1], s[10:11]
	v_fma_f64 v[10:11], v[4:5], s[16:17], v[8:9]
	v_add_f64 v[10:11], v[150:151], v[10:11]
	v_add_f64 v[10:11], v[12:13], v[10:11]
	v_mul_f64 v[12:13], v[219:220], s[36:37]
	buffer_store_dword v12, off, s[60:63], 0 offset:348 ; 4-byte Folded Spill
	buffer_store_dword v13, off, s[60:63], 0 offset:352 ; 4-byte Folded Spill
	v_fma_f64 v[12:13], v[205:206], s[30:31], -v[12:13]
	v_add_f64 v[6:7], v[12:13], v[6:7]
	v_mul_f64 v[12:13], v[215:216], s[30:31]
	buffer_store_dword v12, off, s[60:63], 0 offset:380 ; 4-byte Folded Spill
	buffer_store_dword v13, off, s[60:63], 0 offset:384 ; 4-byte Folded Spill
	v_fma_f64 v[12:13], v[221:222], s[36:37], v[12:13]
	v_add_f64 v[10:11], v[12:13], v[10:11]
	v_mul_f64 v[12:13], v[235:236], s[44:45]
	buffer_store_dword v12, off, s[60:63], 0 offset:324 ; 4-byte Folded Spill
	buffer_store_dword v13, off, s[60:63], 0 offset:328 ; 4-byte Folded Spill
	v_fma_f64 v[12:13], v[217:218], s[42:43], -v[12:13]
	v_add_f64 v[6:7], v[12:13], v[6:7]
	v_mul_f64 v[12:13], v[229:230], s[42:43]
	buffer_store_dword v12, off, s[60:63], 0 offset:364 ; 4-byte Folded Spill
	buffer_store_dword v13, off, s[60:63], 0 offset:368 ; 4-byte Folded Spill
	v_fma_f64 v[12:13], v[231:232], s[44:45], v[12:13]
	;; [unrolled: 10-line block ×5, first 2 shown]
	v_add_f64 v[10:11], v[12:13], v[10:11]
	v_mul_f64 v[12:13], v[211:212], s[50:51]
	buffer_store_dword v12, off, s[60:63], 0 offset:292 ; 4-byte Folded Spill
	buffer_store_dword v13, off, s[60:63], 0 offset:296 ; 4-byte Folded Spill
	v_fma_f64 v[12:13], v[251:252], s[8:9], -v[12:13]
	v_add_f64 v[120:121], v[12:13], v[6:7]
	v_mul_f64 v[6:7], v[239:240], s[8:9]
	buffer_store_dword v6, off, s[60:63], 0 offset:316 ; 4-byte Folded Spill
	buffer_store_dword v7, off, s[60:63], 0 offset:320 ; 4-byte Folded Spill
	v_mul_f64 v[12:13], v[213:214], s[36:37]
	buffer_store_dword v12, off, s[60:63], 0 offset:468 ; 4-byte Folded Spill
	buffer_store_dword v13, off, s[60:63], 0 offset:472 ; 4-byte Folded Spill
	;; [unrolled: 1-line block ×4, first 2 shown]
	v_fma_f64 v[6:7], v[233:234], s[50:51], v[6:7]
	v_add_f64 v[122:123], v[6:7], v[10:11]
	v_mul_f64 v[10:11], v[223:224], s[20:21]
	v_fma_f64 v[12:13], v[201:202], s[30:31], -v[12:13]
	v_fma_f64 v[16:17], v[209:210], s[36:37], v[16:17]
	v_fma_f64 v[6:7], v[249:250], s[18:19], -v[10:11]
	v_add_f64 v[6:7], v[148:149], v[6:7]
	v_add_f64 v[6:7], v[12:13], v[6:7]
	v_mul_f64 v[12:13], v[0:1], s[18:19]
	v_fma_f64 v[14:15], v[4:5], s[20:21], v[12:13]
	v_add_f64 v[14:15], v[150:151], v[14:15]
	v_add_f64 v[14:15], v[16:17], v[14:15]
	v_mul_f64 v[16:17], v[219:220], s[54:55]
	buffer_store_dword v16, off, s[60:63], 0 offset:460 ; 4-byte Folded Spill
	buffer_store_dword v17, off, s[60:63], 0 offset:464 ; 4-byte Folded Spill
	v_fma_f64 v[16:17], v[205:206], s[42:43], -v[16:17]
	v_add_f64 v[6:7], v[16:17], v[6:7]
	v_mul_f64 v[16:17], v[215:216], s[42:43]
	buffer_store_dword v16, off, s[60:63], 0 offset:484 ; 4-byte Folded Spill
	buffer_store_dword v17, off, s[60:63], 0 offset:488 ; 4-byte Folded Spill
	v_fma_f64 v[16:17], v[221:222], s[54:55], v[16:17]
	v_add_f64 v[14:15], v[16:17], v[14:15]
	v_mul_f64 v[16:17], v[235:236], s[34:35]
	buffer_store_dword v16, off, s[60:63], 0 offset:452 ; 4-byte Folded Spill
	buffer_store_dword v17, off, s[60:63], 0 offset:456 ; 4-byte Folded Spill
	v_fma_f64 v[16:17], v[217:218], s[26:27], -v[16:17]
	v_add_f64 v[6:7], v[16:17], v[6:7]
	v_mul_f64 v[16:17], v[229:230], s[26:27]
	buffer_store_dword v16, off, s[60:63], 0 offset:476 ; 4-byte Folded Spill
	buffer_store_dword v17, off, s[60:63], 0 offset:480 ; 4-byte Folded Spill
	v_fma_f64 v[16:17], v[231:232], s[34:35], v[16:17]
	;; [unrolled: 10-line block ×5, first 2 shown]
	v_add_f64 v[14:15], v[16:17], v[14:15]
	v_mul_f64 v[16:17], v[211:212], s[40:41]
	buffer_store_dword v16, off, s[60:63], 0 offset:396 ; 4-byte Folded Spill
	buffer_store_dword v17, off, s[60:63], 0 offset:400 ; 4-byte Folded Spill
	v_fma_f64 v[16:17], v[251:252], s[38:39], -v[16:17]
	v_add_f64 v[124:125], v[16:17], v[6:7]
	v_mul_f64 v[6:7], v[239:240], s[38:39]
	buffer_store_dword v6, off, s[60:63], 0 offset:436 ; 4-byte Folded Spill
	buffer_store_dword v7, off, s[60:63], 0 offset:440 ; 4-byte Folded Spill
	v_mul_f64 v[16:17], v[213:214], s[44:45]
	buffer_store_dword v16, off, s[60:63], 0 offset:548 ; 4-byte Folded Spill
	buffer_store_dword v17, off, s[60:63], 0 offset:552 ; 4-byte Folded Spill
	v_fma_f64 v[6:7], v[233:234], s[40:41], v[6:7]
	v_add_f64 v[126:127], v[6:7], v[14:15]
	v_mul_f64 v[14:15], v[223:224], s[22:23]
	v_fma_f64 v[16:17], v[201:202], s[42:43], -v[16:17]
	v_fma_f64 v[6:7], v[249:250], s[24:25], -v[14:15]
	v_add_f64 v[6:7], v[148:149], v[6:7]
	v_add_f64 v[18:19], v[16:17], v[6:7]
	v_mul_f64 v[16:17], v[0:1], s[24:25]
	v_fma_f64 v[6:7], v[4:5], s[22:23], v[16:17]
	v_add_f64 v[20:21], v[150:151], v[6:7]
	v_mul_f64 v[6:7], v[225:226], s[42:43]
	v_fma_f64 v[22:23], v[209:210], s[44:45], v[6:7]
	v_add_f64 v[22:23], v[22:23], v[20:21]
	v_mul_f64 v[20:21], v[219:220], s[34:35]
	buffer_store_dword v20, off, s[60:63], 0 offset:564 ; 4-byte Folded Spill
	buffer_store_dword v21, off, s[60:63], 0 offset:568 ; 4-byte Folded Spill
	v_fma_f64 v[24:25], v[205:206], s[26:27], -v[20:21]
	v_mul_f64 v[20:21], v[2:3], s[40:41]
	v_add_f64 v[24:25], v[24:25], v[18:19]
	v_fma_f64 v[18:19], v[221:222], s[34:35], v[26:27]
	v_add_f64 v[22:23], v[18:19], v[22:23]
	v_mul_f64 v[18:19], v[235:236], s[50:51]
	buffer_store_dword v18, off, s[60:63], 0 offset:556 ; 4-byte Folded Spill
	buffer_store_dword v19, off, s[60:63], 0 offset:560 ; 4-byte Folded Spill
	buffer_store_dword v20, off, s[60:63], 0 offset:532 ; 4-byte Folded Spill
	buffer_store_dword v21, off, s[60:63], 0 offset:536 ; 4-byte Folded Spill
	v_fma_f64 v[28:29], v[217:218], s[8:9], -v[18:19]
	v_add_f64 v[24:25], v[28:29], v[24:25]
	v_mul_f64 v[28:29], v[229:230], s[8:9]
	v_fma_f64 v[128:129], v[231:232], s[50:51], v[28:29]
	v_add_f64 v[128:129], v[128:129], v[22:23]
	v_mul_f64 v[22:23], v[247:248], s[20:21]
	v_fma_f64 v[130:131], v[237:238], s[18:19], -v[22:23]
	v_add_f64 v[130:131], v[130:131], v[24:25]
	v_mul_f64 v[24:25], v[98:99], s[18:19]
	v_fma_f64 v[18:19], v[245:246], s[20:21], v[24:25]
	v_add_f64 v[18:19], v[18:19], v[128:129]
	v_fma_f64 v[128:129], v[241:242], s[38:39], -v[20:21]
	v_mul_f64 v[20:21], v[243:244], s[38:39]
	buffer_store_dword v20, off, s[60:63], 0 offset:540 ; 4-byte Folded Spill
	buffer_store_dword v21, off, s[60:63], 0 offset:544 ; 4-byte Folded Spill
	v_add_f64 v[128:129], v[128:129], v[130:131]
	v_fma_f64 v[130:131], v[227:228], s[40:41], v[20:21]
	v_mul_f64 v[20:21], v[207:208], s[56:57]
	buffer_store_dword v20, off, s[60:63], 0 offset:516 ; 4-byte Folded Spill
	buffer_store_dword v21, off, s[60:63], 0 offset:520 ; 4-byte Folded Spill
	v_add_f64 v[18:19], v[130:131], v[18:19]
	v_fma_f64 v[130:131], v[253:254], s[30:31], -v[20:21]
	v_mul_f64 v[20:21], v[96:97], s[30:31]
	buffer_store_dword v20, off, s[60:63], 0 offset:524 ; 4-byte Folded Spill
	buffer_store_dword v21, off, s[60:63], 0 offset:528 ; 4-byte Folded Spill
	v_add_f64 v[128:129], v[130:131], v[128:129]
	v_fma_f64 v[130:131], v[203:204], s[56:57], v[20:21]
	v_mul_f64 v[20:21], v[211:212], s[52:53]
	v_add_f64 v[18:19], v[130:131], v[18:19]
	v_fma_f64 v[130:131], v[251:252], s[10:11], -v[20:21]
	v_add_f64 v[128:129], v[130:131], v[128:129]
	v_mul_f64 v[130:131], v[239:240], s[10:11]
	buffer_store_dword v130, off, s[60:63], 0 offset:508 ; 4-byte Folded Spill
	buffer_store_dword v131, off, s[60:63], 0 offset:512 ; 4-byte Folded Spill
	s_waitcnt_vscnt null, 0x0
	s_barrier
	buffer_gl0_inv
	v_fma_f64 v[130:131], v[233:234], s[52:53], v[130:131]
	v_add_f64 v[130:131], v[130:131], v[18:19]
	s_and_saveexec_b32 s1, vcc_lo
	s_cbranch_execz .LBB0_17
; %bb.16:
	v_add_f64 v[18:19], v[150:151], v[170:171]
	v_add_f64 v[168:169], v[148:149], v[168:169]
	buffer_store_dword v20, off, s[60:63], 0 offset:572 ; 4-byte Folded Spill
	buffer_store_dword v21, off, s[60:63], 0 offset:576 ; 4-byte Folded Spill
	s_clause 0x1
	buffer_load_dword v20, off, s[60:63], 0 offset:340
	buffer_load_dword v21, off, s[60:63], 0 offset:344
	v_mul_f64 v[170:171], v[223:224], s[40:41]
	s_mov_b32 s59, 0x3fefdd0d
	s_mov_b32 s58, s22
	v_add_f64 v[18:19], v[18:19], v[174:175]
	v_add_f64 v[168:169], v[168:169], v[172:173]
	v_mul_f64 v[172:173], v[223:224], s[36:37]
	v_mul_f64 v[174:175], v[223:224], s[28:29]
	v_add_f64 v[18:19], v[18:19], v[166:167]
	v_add_f64 v[164:165], v[168:169], v[164:165]
	v_mul_f64 v[166:167], v[4:5], s[28:29]
	v_add_f64 v[18:19], v[18:19], v[182:183]
	v_add_f64 v[164:165], v[164:165], v[180:181]
	v_fma_f64 v[168:169], v[0:1], s[26:27], v[166:167]
	v_fma_f64 v[180:181], v[249:250], s[30:31], -v[172:173]
	v_fma_f64 v[172:173], v[249:250], s[30:31], v[172:173]
	v_fma_f64 v[182:183], v[249:250], s[26:27], -v[174:175]
	v_fma_f64 v[174:175], v[249:250], s[26:27], v[174:175]
	v_add_f64 v[18:19], v[18:19], v[190:191]
	v_add_f64 v[164:165], v[164:165], v[188:189]
	;; [unrolled: 1-line block ×8, first 2 shown]
	v_mul_f64 v[184:185], v[249:250], s[8:9]
	v_add_f64 v[18:19], v[18:19], v[194:195]
	v_add_f64 v[164:165], v[164:165], v[192:193]
	;; [unrolled: 1-line block ×8, first 2 shown]
	v_fma_f64 v[178:179], v[249:250], s[38:39], -v[170:171]
	v_fma_f64 v[170:171], v[249:250], s[38:39], v[170:171]
	v_add_f64 v[18:19], v[18:19], v[162:163]
	v_add_f64 v[152:153], v[152:153], v[160:161]
	v_mul_f64 v[162:163], v[4:5], s[36:37]
	v_add_f64 v[178:179], v[148:149], v[178:179]
	v_add_f64 v[170:171], v[148:149], v[170:171]
	;; [unrolled: 1-line block ×4, first 2 shown]
	v_mul_f64 v[152:153], v[4:5], s[44:45]
	v_mul_f64 v[158:159], v[4:5], s[40:41]
	v_fma_f64 v[164:165], v[0:1], s[30:31], v[162:163]
	v_fma_f64 v[162:163], v[0:1], s[30:31], -v[162:163]
	v_add_f64 v[18:19], v[18:19], v[146:147]
	v_fma_f64 v[154:155], v[0:1], s[42:43], v[152:153]
	v_fma_f64 v[152:153], v[0:1], s[42:43], -v[152:153]
	v_fma_f64 v[160:161], v[0:1], s[38:39], v[158:159]
	v_fma_f64 v[158:159], v[0:1], s[38:39], -v[158:159]
	v_fma_f64 v[0:1], v[0:1], s[26:27], -v[166:167]
	v_mul_f64 v[166:167], v[4:5], s[22:23]
	v_add_f64 v[164:165], v[150:151], v[164:165]
	v_add_f64 v[162:163], v[150:151], v[162:163]
	;; [unrolled: 1-line block ×8, first 2 shown]
	v_add_f64 v[16:17], v[16:17], -v[166:167]
	v_mul_f64 v[166:167], v[249:250], s[24:25]
	v_add_f64 v[152:153], v[148:149], v[174:175]
	v_add_f64 v[14:15], v[166:167], v[14:15]
	v_mul_f64 v[166:167], v[4:5], s[20:21]
	v_add_f64 v[12:13], v[12:13], -v[166:167]
	v_mul_f64 v[166:167], v[249:250], s[18:19]
	v_add_f64 v[10:11], v[166:167], v[10:11]
	v_mul_f64 v[166:167], v[4:5], s[16:17]
	v_mul_f64 v[4:5], v[4:5], s[2:3]
	v_add_f64 v[8:9], v[8:9], -v[166:167]
	s_waitcnt vmcnt(0)
	v_add_f64 v[4:5], v[20:21], -v[4:5]
	s_clause 0x1
	buffer_load_dword v20, off, s[60:63], 0 offset:276
	buffer_load_dword v21, off, s[60:63], 0 offset:280
	v_mul_f64 v[166:167], v[249:250], s[10:11]
	v_add_f64 v[166:167], v[166:167], v[30:31]
	v_mul_f64 v[30:31], v[223:224], s[44:45]
	v_add_f64 v[0:1], v[148:149], v[166:167]
	v_fma_f64 v[176:177], v[249:250], s[42:43], -v[30:31]
	v_fma_f64 v[30:31], v[249:250], s[42:43], v[30:31]
	v_mul_f64 v[166:167], v[221:222], s[40:41]
	buffer_store_dword v0, off, s[60:63], 0 offset:276 ; 4-byte Folded Spill
	buffer_store_dword v1, off, s[60:63], 0 offset:280 ; 4-byte Folded Spill
	v_add_f64 v[176:177], v[148:149], v[176:177]
	v_add_f64 v[190:191], v[148:149], v[30:31]
	;; [unrolled: 1-line block ×8, first 2 shown]
	v_mul_f64 v[150:151], v[209:210], s[50:51]
	v_fma_f64 v[174:175], v[215:216], s[38:39], v[166:167]
	v_mul_f64 v[0:1], v[233:234], s[58:59]
	s_waitcnt vmcnt(0)
	v_add_f64 v[184:185], v[184:185], v[20:21]
	v_mul_f64 v[20:21], v[211:212], s[58:59]
	v_add_f64 v[4:5], v[148:149], v[184:185]
	v_add_f64 v[148:149], v[156:157], v[144:145]
	v_fma_f64 v[144:145], v[225:226], s[8:9], v[150:151]
	v_mul_f64 v[156:157], v[213:214], s[50:51]
	v_add_f64 v[148:149], v[148:149], v[140:141]
	v_add_f64 v[144:145], v[144:145], v[186:187]
	v_fma_f64 v[146:147], v[201:202], s[8:9], -v[156:157]
	v_fma_f64 v[140:141], v[225:226], s[8:9], -v[150:151]
	v_fma_f64 v[142:143], v[201:202], s[8:9], v[156:157]
	v_fma_f64 v[150:151], v[215:216], s[38:39], -v[166:167]
	v_add_f64 v[136:137], v[148:149], v[136:137]
	v_add_f64 v[144:145], v[174:175], v[144:145]
	v_mul_f64 v[174:175], v[219:220], s[40:41]
	v_add_f64 v[146:147], v[146:147], v[176:177]
	v_add_f64 v[140:141], v[140:141], v[188:189]
	;; [unrolled: 1-line block ×3, first 2 shown]
	v_fma_f64 v[176:177], v[205:206], s[38:39], -v[174:175]
	v_add_f64 v[140:141], v[150:151], v[140:141]
	v_fma_f64 v[150:151], v[205:206], s[38:39], v[174:175]
	v_add_f64 v[146:147], v[176:177], v[146:147]
	v_mul_f64 v[176:177], v[231:232], s[52:53]
	v_add_f64 v[142:143], v[150:151], v[142:143]
	v_fma_f64 v[184:185], v[229:230], s[10:11], v[176:177]
	v_fma_f64 v[150:151], v[229:230], s[10:11], -v[176:177]
	v_add_f64 v[144:145], v[184:185], v[144:145]
	v_mul_f64 v[184:185], v[235:236], s[52:53]
	v_add_f64 v[140:141], v[150:151], v[140:141]
	v_fma_f64 v[186:187], v[217:218], s[10:11], -v[184:185]
	v_fma_f64 v[150:151], v[217:218], s[10:11], v[184:185]
	v_add_f64 v[146:147], v[186:187], v[146:147]
	v_mul_f64 v[186:187], v[245:246], s[36:37]
	v_add_f64 v[142:143], v[150:151], v[142:143]
	v_fma_f64 v[192:193], v[98:99], s[30:31], v[186:187]
	v_fma_f64 v[150:151], v[98:99], s[30:31], -v[186:187]
	v_add_f64 v[144:145], v[192:193], v[144:145]
	v_mul_f64 v[192:193], v[247:248], s[36:37]
	v_add_f64 v[140:141], v[150:151], v[140:141]
	v_fma_f64 v[194:195], v[237:238], s[30:31], -v[192:193]
	v_fma_f64 v[150:151], v[237:238], s[30:31], v[192:193]
	v_mul_f64 v[192:193], v[233:234], s[36:37]
	v_add_f64 v[146:147], v[194:195], v[146:147]
	v_mul_f64 v[194:195], v[227:228], s[48:49]
	v_add_f64 v[142:143], v[150:151], v[142:143]
	v_fma_f64 v[196:197], v[243:244], s[18:19], v[194:195]
	v_fma_f64 v[150:151], v[243:244], s[18:19], -v[194:195]
	v_mul_f64 v[194:195], v[211:212], s[48:49]
	v_add_f64 v[144:145], v[196:197], v[144:145]
	v_mul_f64 v[196:197], v[2:3], s[48:49]
	v_add_f64 v[140:141], v[150:151], v[140:141]
	v_fma_f64 v[198:199], v[241:242], s[18:19], -v[196:197]
	v_fma_f64 v[150:151], v[241:242], s[18:19], v[196:197]
	v_add_f64 v[146:147], v[198:199], v[146:147]
	v_mul_f64 v[198:199], v[203:204], s[28:29]
	v_add_f64 v[142:143], v[150:151], v[142:143]
	v_fma_f64 v[223:224], v[96:97], s[26:27], v[198:199]
	v_fma_f64 v[150:151], v[96:97], s[26:27], -v[198:199]
	v_add_f64 v[144:145], v[223:224], v[144:145]
	v_mul_f64 v[223:224], v[207:208], s[28:29]
	v_add_f64 v[140:141], v[150:151], v[140:141]
	v_fma_f64 v[249:250], v[253:254], s[26:27], -v[223:224]
	v_fma_f64 v[150:151], v[253:254], s[26:27], v[223:224]
	v_add_f64 v[249:250], v[249:250], v[146:147]
	v_fma_f64 v[146:147], v[239:240], s[24:25], v[0:1]
	v_fma_f64 v[0:1], v[239:240], s[24:25], -v[0:1]
	v_add_f64 v[150:151], v[150:151], v[142:143]
	v_add_f64 v[146:147], v[146:147], v[144:145]
	v_fma_f64 v[144:145], v[251:252], s[24:25], -v[20:21]
	v_fma_f64 v[20:21], v[251:252], s[24:25], v[20:21]
	v_add_f64 v[142:143], v[0:1], v[140:141]
	v_mul_f64 v[0:1], v[209:210], s[48:49]
	v_add_f64 v[144:145], v[144:145], v[249:250]
	v_add_f64 v[140:141], v[20:21], v[150:151]
	;; [unrolled: 1-line block ×3, first 2 shown]
	v_fma_f64 v[18:19], v[225:226], s[18:19], v[0:1]
	v_fma_f64 v[0:1], v[225:226], s[18:19], -v[0:1]
	v_mul_f64 v[138:139], v[209:210], s[34:35]
	v_mul_f64 v[150:151], v[209:210], s[46:47]
	v_add_f64 v[18:19], v[18:19], v[160:161]
	v_mul_f64 v[160:161], v[213:214], s[48:49]
	v_fma_f64 v[148:149], v[225:226], s[26:27], v[138:139]
	v_add_f64 v[0:1], v[0:1], v[158:159]
	v_fma_f64 v[138:139], v[225:226], s[26:27], -v[138:139]
	v_fma_f64 v[156:157], v[225:226], s[38:39], v[150:151]
	v_fma_f64 v[150:151], v[225:226], s[38:39], -v[150:151]
	v_fma_f64 v[166:167], v[201:202], s[18:19], -v[160:161]
	v_fma_f64 v[158:159], v[201:202], s[18:19], v[160:161]
	v_mul_f64 v[160:161], v[213:214], s[34:35]
	v_add_f64 v[148:149], v[148:149], v[164:165]
	v_add_f64 v[138:139], v[138:139], v[162:163]
	v_mul_f64 v[162:163], v[213:214], s[46:47]
	v_add_f64 v[156:157], v[156:157], v[168:169]
	v_add_f64 v[150:151], v[150:151], v[154:155]
	;; [unrolled: 3-line block ×3, first 2 shown]
	v_fma_f64 v[164:165], v[201:202], s[26:27], -v[160:161]
	v_fma_f64 v[160:161], v[201:202], s[26:27], v[160:161]
	v_mul_f64 v[170:171], v[221:222], s[22:23]
	v_fma_f64 v[168:169], v[201:202], s[38:39], -v[162:163]
	v_fma_f64 v[162:163], v[201:202], s[38:39], v[162:163]
	v_add_f64 v[164:165], v[164:165], v[180:181]
	v_add_f64 v[160:161], v[160:161], v[172:173]
	v_fma_f64 v[172:173], v[215:216], s[24:25], v[170:171]
	v_fma_f64 v[170:171], v[215:216], s[24:25], -v[170:171]
	v_add_f64 v[152:153], v[162:163], v[152:153]
	v_mul_f64 v[162:163], v[209:210], s[44:45]
	v_add_f64 v[168:169], v[168:169], v[182:183]
	v_add_f64 v[18:19], v[172:173], v[18:19]
	v_mul_f64 v[172:173], v[219:220], s[22:23]
	v_add_f64 v[0:1], v[170:171], v[0:1]
	v_add_f64 v[6:7], v[6:7], -v[162:163]
	v_mul_f64 v[162:163], v[221:222], s[34:35]
	v_fma_f64 v[170:171], v[205:206], s[24:25], v[172:173]
	v_fma_f64 v[174:175], v[205:206], s[24:25], -v[172:173]
	v_add_f64 v[6:7], v[6:7], v[30:31]
	v_add_f64 v[26:27], v[26:27], -v[162:163]
	s_clause 0x1
	buffer_load_dword v162, off, s[60:63], 0 offset:548
	buffer_load_dword v163, off, s[60:63], 0 offset:552
	v_mul_f64 v[30:31], v[201:202], s[42:43]
	v_add_f64 v[158:159], v[170:171], v[158:159]
	v_mul_f64 v[170:171], v[221:222], s[2:3]
	v_add_f64 v[166:167], v[174:175], v[166:167]
	v_add_f64 v[6:7], v[26:27], v[6:7]
	v_fma_f64 v[172:173], v[215:216], s[8:9], v[170:171]
	v_fma_f64 v[170:171], v[215:216], s[8:9], -v[170:171]
	v_add_f64 v[148:149], v[172:173], v[148:149]
	v_mul_f64 v[172:173], v[219:220], s[2:3]
	v_add_f64 v[138:139], v[170:171], v[138:139]
	v_fma_f64 v[170:171], v[205:206], s[8:9], v[172:173]
	v_fma_f64 v[174:175], v[205:206], s[8:9], -v[172:173]
	v_add_f64 v[160:161], v[170:171], v[160:161]
	v_mul_f64 v[170:171], v[221:222], s[52:53]
	v_add_f64 v[164:165], v[174:175], v[164:165]
	v_fma_f64 v[172:173], v[215:216], s[10:11], v[170:171]
	v_add_f64 v[156:157], v[172:173], v[156:157]
	v_mul_f64 v[172:173], v[219:220], s[52:53]
	v_fma_f64 v[174:175], v[205:206], s[10:11], -v[172:173]
	v_fma_f64 v[26:27], v[205:206], s[10:11], v[172:173]
	v_add_f64 v[168:169], v[174:175], v[168:169]
	v_mul_f64 v[174:175], v[231:232], s[56:57]
	v_add_f64 v[26:27], v[26:27], v[152:153]
	v_mul_f64 v[152:153], v[205:206], s[26:27]
	v_fma_f64 v[176:177], v[229:230], s[30:31], v[174:175]
	v_fma_f64 v[174:175], v[229:230], s[30:31], -v[174:175]
	v_add_f64 v[18:19], v[176:177], v[18:19]
	v_mul_f64 v[176:177], v[235:236], s[56:57]
	v_add_f64 v[0:1], v[174:175], v[0:1]
	v_fma_f64 v[174:175], v[217:218], s[30:31], v[176:177]
	v_fma_f64 v[178:179], v[217:218], s[30:31], -v[176:177]
	v_add_f64 v[158:159], v[174:175], v[158:159]
	v_mul_f64 v[174:175], v[231:232], s[40:41]
	v_add_f64 v[166:167], v[178:179], v[166:167]
	v_fma_f64 v[176:177], v[229:230], s[38:39], v[174:175]
	v_fma_f64 v[174:175], v[229:230], s[38:39], -v[174:175]
	s_waitcnt vmcnt(0)
	v_add_f64 v[30:31], v[30:31], v[162:163]
	v_mul_f64 v[162:163], v[231:232], s[50:51]
	v_add_f64 v[148:149], v[176:177], v[148:149]
	v_mul_f64 v[176:177], v[235:236], s[40:41]
	v_add_f64 v[138:139], v[174:175], v[138:139]
	v_add_f64 v[16:17], v[30:31], v[16:17]
	v_add_f64 v[28:29], v[28:29], -v[162:163]
	s_clause 0x1
	buffer_load_dword v162, off, s[60:63], 0 offset:564
	buffer_load_dword v163, off, s[60:63], 0 offset:568
	v_mul_f64 v[30:31], v[245:246], s[20:21]
	v_fma_f64 v[174:175], v[217:218], s[38:39], v[176:177]
	v_fma_f64 v[178:179], v[217:218], s[38:39], -v[176:177]
	v_add_f64 v[6:7], v[28:29], v[6:7]
	v_mul_f64 v[28:29], v[237:238], s[18:19]
	v_add_f64 v[24:25], v[24:25], -v[30:31]
	v_mul_f64 v[30:31], v[209:210], s[36:37]
	v_add_f64 v[160:161], v[174:175], v[160:161]
	v_mul_f64 v[174:175], v[231:232], s[20:21]
	v_add_f64 v[164:165], v[178:179], v[164:165]
	v_add_f64 v[22:23], v[28:29], v[22:23]
	v_mul_f64 v[28:29], v[201:202], s[30:31]
	v_add_f64 v[6:7], v[24:25], v[6:7]
	v_mul_f64 v[24:25], v[241:242], s[38:39]
	v_fma_f64 v[176:177], v[229:230], s[18:19], v[174:175]
	v_add_f64 v[156:157], v[176:177], v[156:157]
	v_mul_f64 v[176:177], v[235:236], s[20:21]
	v_fma_f64 v[178:179], v[217:218], s[18:19], -v[176:177]
	v_fma_f64 v[176:177], v[217:218], s[18:19], v[176:177]
	v_add_f64 v[168:169], v[178:179], v[168:169]
	v_mul_f64 v[178:179], v[245:246], s[2:3]
	v_add_f64 v[26:27], v[176:177], v[26:27]
	v_fma_f64 v[180:181], v[98:99], s[8:9], v[178:179]
	v_fma_f64 v[178:179], v[98:99], s[8:9], -v[178:179]
	v_add_f64 v[18:19], v[180:181], v[18:19]
	v_mul_f64 v[180:181], v[247:248], s[2:3]
	v_add_f64 v[0:1], v[178:179], v[0:1]
	v_fma_f64 v[178:179], v[237:238], s[8:9], v[180:181]
	v_fma_f64 v[182:183], v[237:238], s[8:9], -v[180:181]
	;; [unrolled: 5-line block ×4, first 2 shown]
	v_add_f64 v[160:161], v[178:179], v[160:161]
	v_mul_f64 v[178:179], v[245:246], s[44:45]
	v_add_f64 v[164:165], v[182:183], v[164:165]
	s_waitcnt vmcnt(0)
	v_add_f64 v[152:153], v[152:153], v[162:163]
	s_clause 0x1
	buffer_load_dword v162, off, s[60:63], 0 offset:492
	buffer_load_dword v163, off, s[60:63], 0 offset:496
	v_fma_f64 v[180:181], v[98:99], s[42:43], v[178:179]
	v_fma_f64 v[98:99], v[98:99], s[42:43], -v[178:179]
	v_add_f64 v[16:17], v[152:153], v[16:17]
	v_mul_f64 v[152:153], v[245:246], s[52:53]
	v_add_f64 v[156:157], v[180:181], v[156:157]
	v_mul_f64 v[180:181], v[227:228], s[44:45]
	v_fma_f64 v[182:183], v[243:244], s[42:43], v[180:181]
	v_fma_f64 v[180:181], v[243:244], s[42:43], -v[180:181]
	v_add_f64 v[18:19], v[182:183], v[18:19]
	v_mul_f64 v[182:183], v[2:3], s[44:45]
	v_add_f64 v[0:1], v[180:181], v[0:1]
	v_fma_f64 v[180:181], v[241:242], s[42:43], v[182:183]
	v_fma_f64 v[184:185], v[241:242], s[42:43], -v[182:183]
	v_add_f64 v[158:159], v[180:181], v[158:159]
	v_mul_f64 v[180:181], v[227:228], s[16:17]
	v_add_f64 v[166:167], v[184:185], v[166:167]
	;; [unrolled: 5-line block ×3, first 2 shown]
	v_mul_f64 v[2:3], v[2:3], s[58:59]
	v_fma_f64 v[180:181], v[241:242], s[10:11], v[182:183]
	v_fma_f64 v[184:185], v[241:242], s[10:11], -v[182:183]
	v_add_f64 v[160:161], v[180:181], v[160:161]
	v_mul_f64 v[180:181], v[227:228], s[58:59]
	v_add_f64 v[164:165], v[184:185], v[164:165]
	v_fma_f64 v[182:183], v[243:244], s[24:25], v[180:181]
	v_add_f64 v[156:157], v[182:183], v[156:157]
	v_mul_f64 v[182:183], v[203:204], s[52:53]
	v_fma_f64 v[184:185], v[96:97], s[10:11], v[182:183]
	v_fma_f64 v[182:183], v[96:97], s[10:11], -v[182:183]
	v_add_f64 v[18:19], v[184:185], v[18:19]
	v_mul_f64 v[184:185], v[207:208], s[52:53]
	v_add_f64 v[182:183], v[182:183], v[0:1]
	s_waitcnt vmcnt(0)
	v_add_f64 v[30:31], v[162:163], -v[30:31]
	v_fma_f64 v[0:1], v[253:254], s[10:11], v[184:185]
	v_fma_f64 v[186:187], v[253:254], s[10:11], -v[184:185]
	s_clause 0x1
	buffer_load_dword v162, off, s[60:63], 0 offset:468
	buffer_load_dword v163, off, s[60:63], 0 offset:472
	v_add_f64 v[14:15], v[30:31], v[14:15]
	v_add_f64 v[158:159], v[0:1], v[158:159]
	v_mul_f64 v[0:1], v[203:204], s[44:45]
	v_mul_f64 v[30:31], v[209:210], s[22:23]
	v_add_f64 v[166:167], v[186:187], v[166:167]
	v_fma_f64 v[184:185], v[96:97], s[42:43], v[0:1]
	v_fma_f64 v[0:1], v[96:97], s[42:43], -v[0:1]
	v_add_f64 v[148:149], v[184:185], v[148:149]
	v_add_f64 v[138:139], v[0:1], v[138:139]
	v_fma_f64 v[0:1], v[215:216], s[10:11], -v[170:171]
	v_fma_f64 v[170:171], v[237:238], s[42:43], -v[154:155]
	v_mul_f64 v[184:185], v[207:208], s[44:45]
	v_add_f64 v[0:1], v[0:1], v[150:151]
	v_add_f64 v[168:169], v[170:171], v[168:169]
	v_fma_f64 v[150:151], v[241:242], s[24:25], -v[2:3]
	v_fma_f64 v[170:171], v[229:230], s[18:19], -v[174:175]
	v_fma_f64 v[186:187], v[253:254], s[42:43], -v[184:185]
	v_fma_f64 v[2:3], v[241:242], s[24:25], v[2:3]
	v_add_f64 v[150:151], v[150:151], v[168:169]
	s_clause 0x1
	buffer_load_dword v168, off, s[60:63], 0 offset:556
	buffer_load_dword v169, off, s[60:63], 0 offset:560
	v_add_f64 v[0:1], v[170:171], v[0:1]
	v_add_f64 v[164:165], v[186:187], v[164:165]
	v_add_f64 v[0:1], v[98:99], v[0:1]
	v_mul_f64 v[98:99], v[227:228], s[40:41]
	s_waitcnt vmcnt(2)
	v_add_f64 v[28:29], v[28:29], v[162:163]
	v_mul_f64 v[162:163], v[217:218], s[8:9]
	v_add_f64 v[12:13], v[28:29], v[12:13]
	v_mul_f64 v[28:29], v[209:210], s[16:17]
	s_waitcnt vmcnt(0)
	v_add_f64 v[162:163], v[162:163], v[168:169]
	s_clause 0x3
	buffer_load_dword v168, off, s[60:63], 0 offset:500
	buffer_load_dword v169, off, s[60:63], 0 offset:504
	;; [unrolled: 1-line block ×4, first 2 shown]
	v_add_f64 v[16:17], v[162:163], v[16:17]
	v_fma_f64 v[162:163], v[243:244], s[24:25], -v[180:181]
	v_add_f64 v[16:17], v[22:23], v[16:17]
	v_add_f64 v[0:1], v[162:163], v[0:1]
	s_waitcnt vmcnt(2)
	v_add_f64 v[152:153], v[168:169], -v[152:153]
	v_mul_f64 v[168:169], v[221:222], s[54:55]
	s_waitcnt vmcnt(0)
	v_add_f64 v[168:169], v[170:171], -v[168:169]
	s_clause 0x3
	buffer_load_dword v170, off, s[60:63], 0 offset:388
	buffer_load_dword v171, off, s[60:63], 0 offset:392
	buffer_load_dword v172, off, s[60:63], 0 offset:460
	buffer_load_dword v173, off, s[60:63], 0 offset:464
	v_add_f64 v[14:15], v[168:169], v[14:15]
	v_mul_f64 v[168:169], v[221:222], s[36:37]
	s_waitcnt vmcnt(2)
	v_add_f64 v[30:31], v[170:171], -v[30:31]
	v_mul_f64 v[170:171], v[205:206], s[42:43]
	v_add_f64 v[10:11], v[30:31], v[10:11]
	s_waitcnt vmcnt(0)
	v_add_f64 v[170:171], v[170:171], v[172:173]
	s_clause 0x7
	buffer_load_dword v172, off, s[60:63], 0 offset:172
	buffer_load_dword v173, off, s[60:63], 0 offset:176
	;; [unrolled: 1-line block ×8, first 2 shown]
	v_mul_f64 v[30:31], v[217:218], s[26:27]
	v_add_f64 v[12:13], v[170:171], v[12:13]
	v_mul_f64 v[170:171], v[221:222], s[20:21]
	s_waitcnt vmcnt(6)
	v_add_f64 v[28:29], v[172:173], -v[28:29]
	v_mul_f64 v[172:173], v[231:232], s[34:35]
	v_add_f64 v[8:9], v[28:29], v[8:9]
	s_waitcnt vmcnt(4)
	v_add_f64 v[172:173], v[174:175], -v[172:173]
	v_mul_f64 v[174:175], v[201:202], s[10:11]
	v_mul_f64 v[28:29], v[205:206], s[30:31]
	v_add_f64 v[14:15], v[172:173], v[14:15]
	s_waitcnt vmcnt(2)
	v_add_f64 v[174:175], v[174:175], v[178:179]
	v_mul_f64 v[178:179], v[201:202], s[24:25]
	v_mul_f64 v[172:173], v[231:232], s[44:45]
	v_fma_f64 v[201:202], v[251:252], s[18:19], v[194:195]
	v_fma_f64 v[194:195], v[251:252], s[18:19], -v[194:195]
	v_add_f64 v[14:15], v[152:153], v[14:15]
	v_add_f64 v[4:5], v[174:175], v[4:5]
	s_waitcnt vmcnt(0)
	v_add_f64 v[178:179], v[178:179], v[186:187]
	s_clause 0x1
	buffer_load_dword v186, off, s[60:63], 0 offset:380
	buffer_load_dword v187, off, s[60:63], 0 offset:384
	v_mul_f64 v[152:153], v[241:242], s[8:9]
	s_waitcnt vmcnt(0)
	v_add_f64 v[168:169], v[186:187], -v[168:169]
	s_clause 0x1
	buffer_load_dword v186, off, s[60:63], 0 offset:452
	buffer_load_dword v187, off, s[60:63], 0 offset:456
	v_add_f64 v[10:11], v[168:169], v[10:11]
	v_mul_f64 v[168:169], v[237:238], s[10:11]
	s_waitcnt vmcnt(0)
	v_add_f64 v[30:31], v[30:31], v[186:187]
	s_clause 0x1
	buffer_load_dword v186, off, s[60:63], 0 offset:180
	buffer_load_dword v187, off, s[60:63], 0 offset:184
	v_add_f64 v[12:13], v[30:31], v[12:13]
	v_mul_f64 v[30:31], v[231:232], s[22:23]
	s_waitcnt vmcnt(0)
	v_add_f64 v[170:171], v[186:187], -v[170:171]
	s_clause 0x5
	buffer_load_dword v186, off, s[60:63], 0 offset:348
	buffer_load_dword v187, off, s[60:63], 0 offset:352
	;; [unrolled: 1-line block ×6, first 2 shown]
	v_add_f64 v[8:9], v[170:171], v[8:9]
	v_mul_f64 v[170:171], v[217:218], s[42:43]
	s_waitcnt vmcnt(4)
	v_add_f64 v[28:29], v[28:29], v[186:187]
	v_mul_f64 v[186:187], v[205:206], s[18:19]
	s_waitcnt vmcnt(0)
	v_add_f64 v[174:175], v[178:179], v[174:175]
	s_clause 0x1
	buffer_load_dword v178, off, s[60:63], 0 offset:364
	buffer_load_dword v179, off, s[60:63], 0 offset:368
	v_add_f64 v[186:187], v[186:187], v[188:189]
	v_add_f64 v[28:29], v[28:29], v[174:175]
	v_mul_f64 v[174:175], v[245:246], s[46:47]
	v_add_f64 v[4:5], v[186:187], v[4:5]
	s_waitcnt vmcnt(0)
	v_add_f64 v[172:173], v[178:179], -v[172:173]
	s_clause 0x1
	buffer_load_dword v178, off, s[60:63], 0 offset:444
	buffer_load_dword v179, off, s[60:63], 0 offset:448
	v_add_f64 v[10:11], v[172:173], v[10:11]
	v_mul_f64 v[172:173], v[237:238], s[38:39]
	s_waitcnt vmcnt(0)
	v_add_f64 v[168:169], v[168:169], v[178:179]
	s_clause 0x1
	buffer_load_dword v178, off, s[60:63], 0 offset:196
	buffer_load_dword v179, off, s[60:63], 0 offset:200
	v_add_f64 v[12:13], v[168:169], v[12:13]
	s_waitcnt vmcnt(0)
	v_add_f64 v[30:31], v[178:179], -v[30:31]
	s_clause 0x5
	buffer_load_dword v178, off, s[60:63], 0 offset:324
	buffer_load_dword v179, off, s[60:63], 0 offset:328
	;; [unrolled: 1-line block ×6, first 2 shown]
	v_add_f64 v[8:9], v[30:31], v[8:9]
	v_fma_f64 v[30:31], v[237:238], s[42:43], v[154:155]
	v_mul_f64 v[154:155], v[237:238], s[26:27]
	v_add_f64 v[22:23], v[30:31], v[26:27]
	v_mul_f64 v[26:27], v[203:204], s[2:3]
	v_add_f64 v[2:3], v[2:3], v[22:23]
	v_fma_f64 v[30:31], v[96:97], s[8:9], v[26:27]
	v_fma_f64 v[26:27], v[96:97], s[8:9], -v[26:27]
	v_mul_f64 v[96:97], v[203:204], s[56:57]
	v_add_f64 v[156:157], v[30:31], v[156:157]
	v_add_f64 v[22:23], v[26:27], v[0:1]
	v_mul_f64 v[0:1], v[233:234], s[52:53]
	s_waitcnt vmcnt(4)
	v_add_f64 v[170:171], v[170:171], v[178:179]
	v_mul_f64 v[178:179], v[217:218], s[24:25]
	s_waitcnt vmcnt(0)
	v_add_f64 v[174:175], v[186:187], -v[174:175]
	s_clause 0x1
	buffer_load_dword v186, off, s[60:63], 0 offset:308
	buffer_load_dword v187, off, s[60:63], 0 offset:312
	v_add_f64 v[28:29], v[170:171], v[28:29]
	v_add_f64 v[178:179], v[178:179], v[188:189]
	s_clause 0x1
	buffer_load_dword v188, off, s[60:63], 0 offset:220
	buffer_load_dword v189, off, s[60:63], 0 offset:224
	v_add_f64 v[10:11], v[174:175], v[10:11]
	v_mul_f64 v[174:175], v[241:242], s[26:27]
	v_add_f64 v[4:5], v[178:179], v[4:5]
	s_waitcnt vmcnt(2)
	v_add_f64 v[172:173], v[172:173], v[186:187]
	v_mul_f64 v[186:187], v[245:246], s[28:29]
	v_add_f64 v[28:29], v[172:173], v[28:29]
	s_waitcnt vmcnt(0)
	v_add_f64 v[186:187], v[188:189], -v[186:187]
	s_clause 0x3
	buffer_load_dword v188, off, s[60:63], 0 offset:204
	buffer_load_dword v189, off, s[60:63], 0 offset:208
	;; [unrolled: 1-line block ×4, first 2 shown]
	v_add_f64 v[8:9], v[186:187], v[8:9]
	s_waitcnt vmcnt(2)
	v_add_f64 v[154:155], v[154:155], v[188:189]
	s_waitcnt vmcnt(0)
	v_add_f64 v[98:99], v[170:171], -v[98:99]
	s_clause 0x3
	buffer_load_dword v170, off, s[60:63], 0 offset:532
	buffer_load_dword v171, off, s[60:63], 0 offset:536
	;; [unrolled: 1-line block ×4, first 2 shown]
	v_add_f64 v[4:5], v[154:155], v[4:5]
	v_add_f64 v[6:7], v[98:99], v[6:7]
	v_mul_f64 v[98:99], v[253:254], s[30:31]
	s_waitcnt vmcnt(2)
	v_add_f64 v[24:25], v[24:25], v[170:171]
	v_mul_f64 v[170:171], v[227:228], s[2:3]
	v_add_f64 v[16:17], v[24:25], v[16:17]
	s_waitcnt vmcnt(0)
	v_add_f64 v[170:171], v[176:177], -v[170:171]
	s_clause 0x3
	buffer_load_dword v176, off, s[60:63], 0 offset:420
	buffer_load_dword v177, off, s[60:63], 0 offset:424
	;; [unrolled: 1-line block ×4, first 2 shown]
	v_add_f64 v[14:15], v[170:171], v[14:15]
	s_waitcnt vmcnt(2)
	v_add_f64 v[152:153], v[152:153], v[176:177]
	v_mul_f64 v[176:177], v[227:228], s[34:35]
	v_add_f64 v[12:13], v[152:153], v[12:13]
	s_waitcnt vmcnt(0)
	v_add_f64 v[176:177], v[178:179], -v[176:177]
	s_clause 0x7
	buffer_load_dword v178, off, s[60:63], 0 offset:284
	buffer_load_dword v179, off, s[60:63], 0 offset:288
	;; [unrolled: 1-line block ×8, first 2 shown]
	v_add_f64 v[10:11], v[176:177], v[10:11]
	s_waitcnt vmcnt(6)
	v_add_f64 v[174:175], v[174:175], v[178:179]
	v_mul_f64 v[178:179], v[227:228], s[36:37]
	s_waitcnt vmcnt(0)
	v_add_f64 v[96:97], v[154:155], -v[96:97]
	s_clause 0xf
	buffer_load_dword v154, off, s[60:63], 0 offset:516
	buffer_load_dword v155, off, s[60:63], 0 offset:520
	;; [unrolled: 1-line block ×16, first 2 shown]
	v_add_f64 v[28:29], v[174:175], v[28:29]
	v_add_f64 v[178:179], v[180:181], -v[178:179]
	v_mul_f64 v[180:181], v[241:242], s[30:31]
	v_add_f64 v[26:27], v[96:97], v[6:7]
	s_clause 0x1
	buffer_load_dword v96, off, s[60:63], 0 offset:572
	buffer_load_dword v97, off, s[60:63], 0 offset:576
	v_mul_f64 v[6:7], v[233:234], s[40:41]
	v_add_f64 v[8:9], v[178:179], v[8:9]
	v_add_f64 v[180:181], v[180:181], v[186:187]
	v_fma_f64 v[178:179], v[253:254], s[42:43], v[184:185]
	v_mul_f64 v[186:187], v[253:254], s[38:39]
	v_add_f64 v[4:5], v[180:181], v[4:5]
	v_add_f64 v[160:161], v[178:179], v[160:161]
	s_waitcnt vmcnt(16)
	v_add_f64 v[98:99], v[98:99], v[154:155]
	v_mul_f64 v[154:155], v[203:204], s[22:23]
	s_waitcnt vmcnt(4)
	v_add_f64 v[186:187], v[186:187], v[188:189]
	s_waitcnt vmcnt(2)
	v_add_f64 v[24:25], v[24:25], -v[0:1]
	v_mul_f64 v[0:1], v[251:252], s[10:11]
	v_add_f64 v[16:17], v[98:99], v[16:17]
	v_add_f64 v[154:155], v[162:163], -v[154:155]
	v_mul_f64 v[162:163], v[253:254], s[24:25]
	v_add_f64 v[98:99], v[20:21], v[134:135]
	v_add_f64 v[186:187], v[186:187], v[4:5]
	s_waitcnt vmcnt(0)
	v_add_f64 v[152:153], v[0:1], v[96:97]
	s_clause 0x5
	buffer_load_dword v96, off, s[60:63], 0 offset:436
	buffer_load_dword v97, off, s[60:63], 0 offset:440
	;; [unrolled: 1-line block ×6, first 2 shown]
	v_mul_f64 v[0:1], v[251:252], s[38:39]
	v_add_f64 v[154:155], v[154:155], v[14:15]
	v_add_f64 v[162:163], v[162:163], v[168:169]
	v_mul_f64 v[168:169], v[203:204], s[48:49]
	v_mul_f64 v[14:15], v[251:252], s[8:9]
	v_add_f64 v[16:17], v[152:153], v[16:17]
	v_add_f64 v[12:13], v[162:163], v[12:13]
	v_add_f64 v[168:169], v[170:171], -v[168:169]
	v_mul_f64 v[170:171], v[253:254], s[18:19]
	v_fma_f64 v[162:163], v[239:240], s[30:31], -v[192:193]
	v_fma_f64 v[192:193], v[239:240], s[30:31], v[192:193]
	v_add_f64 v[168:169], v[168:169], v[10:11]
	s_clause 0x5
	buffer_load_dword v10, off, s[60:63], 0 offset:292
	buffer_load_dword v11, off, s[60:63], 0 offset:296
	;; [unrolled: 1-line block ×6, first 2 shown]
	v_add_f64 v[170:171], v[170:171], v[172:173]
	v_mul_f64 v[172:173], v[203:204], s[40:41]
	v_add_f64 v[170:171], v[170:171], v[28:29]
	v_add_f64 v[172:173], v[176:177], -v[172:173]
	v_mul_f64 v[176:177], v[207:208], s[2:3]
	v_add_f64 v[8:9], v[172:173], v[8:9]
	v_fma_f64 v[184:185], v[253:254], s[8:9], -v[176:177]
	v_fma_f64 v[176:177], v[253:254], s[8:9], v[176:177]
	v_mul_f64 v[172:173], v[211:212], s[36:37]
	v_add_f64 v[150:151], v[184:185], v[150:151]
	v_add_f64 v[176:177], v[176:177], v[2:3]
	v_fma_f64 v[198:199], v[251:252], s[30:31], v[172:173]
	v_fma_f64 v[172:173], v[251:252], s[30:31], -v[172:173]
	s_waitcnt vmcnt(10)
	v_add_f64 v[96:97], v[96:97], -v[6:7]
	s_waitcnt vmcnt(8)
	v_add_f64 v[174:175], v[0:1], v[174:175]
	v_mul_f64 v[0:1], v[233:234], s[44:45]
	v_mul_f64 v[6:7], v[233:234], s[50:51]
	v_add_f64 v[20:21], v[174:175], v[12:13]
	v_add_f64 v[12:13], v[198:199], v[176:177]
	s_waitcnt vmcnt(6)
	v_add_f64 v[180:181], v[180:181], -v[6:7]
	v_mul_f64 v[6:7], v[251:252], s[42:43]
	s_waitcnt vmcnt(4)
	v_add_f64 v[188:189], v[14:15], v[10:11]
	s_waitcnt vmcnt(2)
	v_add_f64 v[190:191], v[190:191], -v[0:1]
	v_mul_f64 v[0:1], v[233:234], s[48:49]
	v_mul_f64 v[10:11], v[233:234], s[28:29]
	;; [unrolled: 1-line block ×3, first 2 shown]
	s_waitcnt vmcnt(0)
	v_add_f64 v[196:197], v[6:7], v[196:197]
	v_add_f64 v[30:31], v[190:191], v[8:9]
	v_fma_f64 v[178:179], v[239:240], s[18:19], v[0:1]
	v_fma_f64 v[4:5], v[239:240], s[26:27], v[10:11]
	v_fma_f64 v[6:7], v[251:252], s[26:27], -v[14:15]
	v_fma_f64 v[14:15], v[251:252], s[26:27], v[14:15]
	v_fma_f64 v[10:11], v[239:240], s[26:27], -v[10:11]
	v_fma_f64 v[28:29], v[239:240], s[18:19], -v[0:1]
	v_add_f64 v[8:9], v[201:202], v[160:161]
	v_add_f64 v[134:135], v[178:179], v[148:149]
	buffer_load_dword v148, off, s[60:63], 0 ; 4-byte Folded Reload
	v_add_f64 v[2:3], v[4:5], v[18:19]
	v_add_f64 v[4:5], v[14:15], v[158:159]
	;; [unrolled: 1-line block ×15, first 2 shown]
	v_mov_b32_e32 v149, 4
	s_waitcnt vmcnt(0)
	v_mul_lo_u16 v148, v148, 17
	v_lshlrev_b32_sdwa v148, v149, v148 dst_sel:DWORD dst_unused:UNUSED_PAD src0_sel:DWORD src1_sel:WORD_0
	ds_write_b128 v148, v[96:99]
	ds_write_b128 v148, v[28:31] offset:16
	ds_write_b128 v148, v[24:27] offset:32
	ds_write_b128 v148, v[20:23] offset:48
	ds_write_b128 v148, v[16:19] offset:64
	ds_write_b128 v148, v[12:15] offset:80
	ds_write_b128 v148, v[8:11] offset:96
	ds_write_b128 v148, v[4:7] offset:112
	ds_write_b128 v148, v[140:143] offset:128
	ds_write_b128 v148, v[144:147] offset:144
	ds_write_b128 v148, v[0:3] offset:160
	ds_write_b128 v148, v[132:135] offset:176
	ds_write_b128 v148, v[136:139] offset:192
	ds_write_b128 v148, v[128:131] offset:208
	ds_write_b128 v148, v[124:127] offset:224
	ds_write_b128 v148, v[120:123] offset:240
	ds_write_b128 v148, v[116:119] offset:256
.LBB0_17:
	s_or_b32 exec_lo, exec_lo, s1
	s_waitcnt lgkmcnt(0)
	s_waitcnt_vscnt null, 0x0
	s_barrier
	buffer_gl0_inv
	ds_read_b128 v[132:135], v255
	ds_read_b128 v[0:3], v255 offset:2448
	ds_read_b128 v[4:7], v255 offset:4896
	;; [unrolled: 1-line block ×12, first 2 shown]
	s_mov_b32 s22, 0x4267c47c
	s_mov_b32 s16, 0x42a4c3d2
	;; [unrolled: 1-line block ×8, first 2 shown]
	s_waitcnt lgkmcnt(11)
	v_mul_f64 v[12:13], v[94:95], v[2:3]
	s_mov_b32 s3, 0xbfefc445
	s_mov_b32 s29, 0xbfedeba7
	;; [unrolled: 1-line block ×9, first 2 shown]
	s_waitcnt lgkmcnt(1)
	v_mul_f64 v[18:19], v[110:111], v[154:155]
	s_mov_b32 s44, 0x93053d00
	s_mov_b32 s25, 0x3fec55a7
	;; [unrolled: 1-line block ×11, first 2 shown]
	v_fma_f64 v[30:31], v[92:93], v[0:1], v[12:13]
	v_mul_f64 v[0:1], v[94:95], v[0:1]
	s_mov_b32 s11, 0x3fefc445
	s_mov_b32 s10, s2
	;; [unrolled: 1-line block ×8, first 2 shown]
	s_waitcnt lgkmcnt(0)
	s_barrier
	buffer_gl0_inv
	v_fma_f64 v[92:93], v[92:93], v[2:3], -v[0:1]
	v_mul_f64 v[0:1], v[90:91], v[6:7]
	v_mul_f64 v[2:3], v[82:83], v[22:23]
	v_fma_f64 v[20:21], v[88:89], v[4:5], v[0:1]
	v_mul_f64 v[0:1], v[90:91], v[4:5]
	v_fma_f64 v[2:3], v[80:81], v[24:25], -v[2:3]
	v_mul_f64 v[4:5], v[78:79], v[28:29]
	v_fma_f64 v[16:17], v[88:89], v[6:7], -v[0:1]
	v_mul_f64 v[0:1], v[86:87], v[10:11]
	v_mul_f64 v[6:7], v[102:103], v[144:145]
	v_fma_f64 v[12:13], v[84:85], v[8:9], v[0:1]
	v_mul_f64 v[0:1], v[86:87], v[8:9]
	v_fma_f64 v[6:7], v[100:101], v[146:147], -v[6:7]
	v_fma_f64 v[8:9], v[84:85], v[10:11], -v[0:1]
	v_mul_f64 v[0:1], v[82:83], v[24:25]
	v_mul_f64 v[24:25], v[114:115], v[158:159]
	;; [unrolled: 1-line block ×3, first 2 shown]
	v_fma_f64 v[0:1], v[80:81], v[22:23], v[0:1]
	v_fma_f64 v[80:81], v[76:77], v[26:27], v[4:5]
	v_mul_f64 v[4:5], v[78:79], v[26:27]
	v_fma_f64 v[26:27], v[112:113], v[156:157], v[24:25]
	v_mul_f64 v[24:25], v[114:115], v[156:157]
	;; [unrolled: 2-line block ×4, first 2 shown]
	v_fma_f64 v[78:79], v[76:77], v[28:29], -v[4:5]
	v_mul_f64 v[4:5], v[74:75], v[98:99]
	v_fma_f64 v[84:85], v[112:113], v[158:159], -v[24:25]
	v_add_f64 v[24:25], v[132:133], v[30:31]
	v_add_f64 v[28:29], v[134:135], v[92:93]
	v_fma_f64 v[10:11], v[104:105], v[150:151], -v[10:11]
	v_fma_f64 v[18:19], v[108:109], v[154:155], -v[18:19]
	v_add_f64 v[148:149], v[12:13], -v[14:15]
	v_fma_f64 v[76:77], v[72:73], v[96:97], v[4:5]
	v_mul_f64 v[4:5], v[74:75], v[96:97]
	v_add_f64 v[24:25], v[24:25], v[20:21]
	v_add_f64 v[28:29], v[28:29], v[16:17]
	v_add_f64 v[150:151], v[8:9], -v[10:11]
	v_fma_f64 v[72:73], v[72:73], v[98:99], -v[4:5]
	v_mul_f64 v[4:5], v[70:71], v[138:139]
	v_add_f64 v[24:25], v[24:25], v[12:13]
	v_add_f64 v[28:29], v[28:29], v[8:9]
	v_fma_f64 v[74:75], v[68:69], v[136:137], v[4:5]
	v_mul_f64 v[4:5], v[70:71], v[136:137]
	v_add_f64 v[24:25], v[24:25], v[0:1]
	v_add_f64 v[28:29], v[28:29], v[2:3]
	v_fma_f64 v[68:69], v[68:69], v[138:139], -v[4:5]
	v_mul_f64 v[4:5], v[66:67], v[142:143]
	v_add_f64 v[24:25], v[24:25], v[80:81]
	v_add_f64 v[28:29], v[28:29], v[78:79]
	v_fma_f64 v[82:83], v[64:65], v[140:141], v[4:5]
	v_mul_f64 v[4:5], v[66:67], v[140:141]
	v_add_f64 v[24:25], v[24:25], v[76:77]
	v_add_f64 v[28:29], v[28:29], v[72:73]
	v_fma_f64 v[70:71], v[64:65], v[142:143], -v[4:5]
	v_mul_f64 v[4:5], v[102:103], v[146:147]
	v_add_f64 v[24:25], v[24:25], v[74:75]
	v_add_f64 v[28:29], v[28:29], v[68:69]
	v_fma_f64 v[4:5], v[100:101], v[144:145], v[4:5]
	v_add_f64 v[24:25], v[24:25], v[82:83]
	v_add_f64 v[28:29], v[28:29], v[70:71]
	;; [unrolled: 1-line block ×10, first 2 shown]
	v_add_f64 v[26:27], v[30:31], -v[26:27]
	v_add_f64 v[30:31], v[92:93], -v[84:85]
	v_add_f64 v[66:67], v[28:29], v[84:85]
	v_add_f64 v[28:29], v[92:93], v[84:85]
	v_mul_f64 v[84:85], v[30:31], s[22:23]
	v_mul_f64 v[92:93], v[30:31], s[16:17]
	;; [unrolled: 1-line block ×12, first 2 shown]
	v_fma_f64 v[86:87], v[24:25], s[24:25], v[84:85]
	v_fma_f64 v[84:85], v[24:25], s[24:25], -v[84:85]
	v_fma_f64 v[94:95], v[24:25], s[18:19], v[92:93]
	v_fma_f64 v[92:93], v[24:25], s[18:19], -v[92:93]
	;; [unrolled: 2-line block ×6, first 2 shown]
	v_add_f64 v[30:31], v[16:17], v[18:19]
	v_add_f64 v[16:17], v[16:17], -v[18:19]
	v_fma_f64 v[90:91], v[26:27], s[26:27], v[88:89]
	v_fma_f64 v[88:89], v[26:27], s[22:23], v[88:89]
	;; [unrolled: 1-line block ×12, first 2 shown]
	v_add_f64 v[28:29], v[20:21], v[22:23]
	v_add_f64 v[86:87], v[132:133], v[86:87]
	v_add_f64 v[20:21], v[20:21], -v[22:23]
	v_add_f64 v[84:85], v[132:133], v[84:85]
	v_add_f64 v[94:95], v[132:133], v[94:95]
	;; [unrolled: 1-line block ×6, first 2 shown]
	v_mul_f64 v[18:19], v[16:17], s[16:17]
	v_add_f64 v[108:109], v[132:133], v[108:109]
	v_add_f64 v[88:89], v[134:135], v[88:89]
	;; [unrolled: 1-line block ×17, first 2 shown]
	v_fma_f64 v[22:23], v[28:29], s[18:19], v[18:19]
	v_fma_f64 v[18:19], v[28:29], s[18:19], -v[18:19]
	v_add_f64 v[22:23], v[22:23], v[86:87]
	v_mul_f64 v[86:87], v[30:31], s[18:19]
	v_add_f64 v[18:19], v[18:19], v[84:85]
	v_fma_f64 v[132:133], v[20:21], s[20:21], v[86:87]
	v_fma_f64 v[84:85], v[20:21], s[16:17], v[86:87]
	v_mul_f64 v[86:87], v[16:17], s[28:29]
	v_add_f64 v[90:91], v[132:133], v[90:91]
	v_add_f64 v[84:85], v[84:85], v[88:89]
	v_fma_f64 v[88:89], v[28:29], s[30:31], v[86:87]
	v_fma_f64 v[86:87], v[28:29], s[30:31], -v[86:87]
	v_add_f64 v[88:89], v[88:89], v[94:95]
	v_mul_f64 v[94:95], v[30:31], s[30:31]
	v_add_f64 v[86:87], v[86:87], v[92:93]
	v_fma_f64 v[92:93], v[20:21], s[28:29], v[94:95]
	v_fma_f64 v[132:133], v[20:21], s[34:35], v[94:95]
	v_add_f64 v[96:97], v[92:93], v[96:97]
	v_mul_f64 v[92:93], v[16:17], s[42:43]
	v_add_f64 v[98:99], v[132:133], v[98:99]
	v_fma_f64 v[94:95], v[28:29], s[44:45], v[92:93]
	v_fma_f64 v[92:93], v[28:29], s[44:45], -v[92:93]
	v_add_f64 v[102:103], v[94:95], v[102:103]
	v_mul_f64 v[94:95], v[30:31], s[44:45]
	v_add_f64 v[100:101], v[92:93], v[100:101]
	v_fma_f64 v[92:93], v[20:21], s[42:43], v[94:95]
	v_fma_f64 v[132:133], v[20:21], s[46:47], v[94:95]
	v_add_f64 v[104:105], v[92:93], v[104:105]
	v_mul_f64 v[92:93], v[16:17], s[40:41]
	v_add_f64 v[106:107], v[132:133], v[106:107]
	v_fma_f64 v[94:95], v[28:29], s[38:39], v[92:93]
	v_fma_f64 v[92:93], v[28:29], s[38:39], -v[92:93]
	v_add_f64 v[110:111], v[94:95], v[110:111]
	v_mul_f64 v[94:95], v[30:31], s[38:39]
	v_fma_f64 v[132:133], v[20:21], s[36:37], v[94:95]
	v_add_f64 v[114:115], v[132:133], v[114:115]
	v_add_f64 v[132:133], v[92:93], v[108:109]
	v_fma_f64 v[92:93], v[20:21], s[40:41], v[94:95]
	v_add_f64 v[112:113], v[92:93], v[112:113]
	v_mul_f64 v[92:93], v[16:17], s[10:11]
	v_mul_f64 v[16:17], v[16:17], s[26:27]
	v_fma_f64 v[94:95], v[28:29], s[8:9], v[92:93]
	v_fma_f64 v[92:93], v[28:29], s[8:9], -v[92:93]
	v_add_f64 v[134:135], v[94:95], v[138:139]
	v_mul_f64 v[94:95], v[30:31], s[8:9]
	v_add_f64 v[136:137], v[92:93], v[136:137]
	v_mul_f64 v[30:31], v[30:31], s[24:25]
	v_fma_f64 v[92:93], v[20:21], s[10:11], v[94:95]
	v_fma_f64 v[108:109], v[20:21], s[2:3], v[94:95]
	v_add_f64 v[140:141], v[92:93], v[140:141]
	v_fma_f64 v[92:93], v[28:29], s[24:25], v[16:17]
	v_fma_f64 v[16:17], v[28:29], s[24:25], -v[16:17]
	v_add_f64 v[138:139], v[108:109], v[142:143]
	v_add_f64 v[142:143], v[92:93], v[144:145]
	v_fma_f64 v[92:93], v[20:21], s[22:23], v[30:31]
	v_add_f64 v[28:29], v[16:17], v[24:25]
	v_fma_f64 v[16:17], v[20:21], s[26:27], v[30:31]
	v_add_f64 v[24:25], v[8:9], v[10:11]
	v_mul_f64 v[8:9], v[150:151], s[2:3]
	v_add_f64 v[144:145], v[92:93], v[146:147]
	v_add_f64 v[146:147], v[16:17], v[26:27]
	v_add_f64 v[26:27], v[12:13], v[14:15]
	v_mul_f64 v[20:21], v[24:25], s[18:19]
	v_fma_f64 v[10:11], v[26:27], s[8:9], v[8:9]
	v_fma_f64 v[8:9], v[26:27], s[8:9], -v[8:9]
	v_fma_f64 v[16:17], v[148:149], s[20:21], v[20:21]
	v_fma_f64 v[20:21], v[148:149], s[16:17], v[20:21]
	v_add_f64 v[152:153], v[10:11], v[22:23]
	v_mul_f64 v[10:11], v[24:25], s[8:9]
	v_add_f64 v[156:157], v[8:9], v[18:19]
	v_mul_f64 v[18:19], v[150:151], s[16:17]
	v_add_f64 v[20:21], v[20:21], v[140:141]
	v_add_f64 v[16:17], v[16:17], v[138:139]
	v_add_f64 v[138:139], v[72:73], -v[68:69]
	v_fma_f64 v[8:9], v[148:149], s[2:3], v[10:11]
	v_fma_f64 v[12:13], v[148:149], s[10:11], v[10:11]
	;; [unrolled: 1-line block ×3, first 2 shown]
	v_fma_f64 v[18:19], v[26:27], s[18:19], -v[18:19]
	v_add_f64 v[158:159], v[8:9], v[84:85]
	v_mul_f64 v[8:9], v[150:151], s[42:43]
	v_add_f64 v[154:155], v[12:13], v[90:91]
	v_add_f64 v[14:15], v[14:15], v[134:135]
	;; [unrolled: 1-line block ×4, first 2 shown]
	v_fma_f64 v[10:11], v[26:27], s[44:45], v[8:9]
	v_fma_f64 v[8:9], v[26:27], s[44:45], -v[8:9]
	v_add_f64 v[108:109], v[10:11], v[88:89]
	v_mul_f64 v[10:11], v[24:25], s[44:45]
	v_add_f64 v[94:95], v[8:9], v[86:87]
	v_fma_f64 v[8:9], v[148:149], s[42:43], v[10:11]
	v_fma_f64 v[12:13], v[148:149], s[46:47], v[10:11]
	v_add_f64 v[96:97], v[8:9], v[96:97]
	v_mul_f64 v[8:9], v[150:151], s[34:35]
	v_add_f64 v[92:93], v[12:13], v[98:99]
	v_mul_f64 v[98:99], v[150:151], s[36:37]
	v_fma_f64 v[10:11], v[26:27], s[30:31], v[8:9]
	v_fma_f64 v[8:9], v[26:27], s[30:31], -v[8:9]
	v_fma_f64 v[22:23], v[26:27], s[38:39], v[98:99]
	v_add_f64 v[90:91], v[10:11], v[102:103]
	v_mul_f64 v[10:11], v[24:25], s[30:31]
	v_add_f64 v[86:87], v[8:9], v[100:101]
	v_mul_f64 v[100:101], v[24:25], s[38:39]
	v_add_f64 v[22:23], v[22:23], v[142:143]
	v_fma_f64 v[12:13], v[148:149], s[28:29], v[10:11]
	v_fma_f64 v[8:9], v[148:149], s[34:35], v[10:11]
	v_mul_f64 v[10:11], v[150:151], s[26:27]
	v_add_f64 v[84:85], v[12:13], v[106:107]
	v_add_f64 v[88:89], v[8:9], v[104:105]
	v_fma_f64 v[8:9], v[26:27], s[24:25], v[10:11]
	v_fma_f64 v[10:11], v[26:27], s[24:25], -v[10:11]
	v_fma_f64 v[26:27], v[26:27], s[38:39], -v[98:99]
	v_mul_f64 v[12:13], v[24:25], s[24:25]
	v_fma_f64 v[24:25], v[148:149], s[40:41], v[100:101]
	v_add_f64 v[98:99], v[0:1], v[4:5]
	v_add_f64 v[0:1], v[0:1], -v[4:5]
	v_add_f64 v[30:31], v[8:9], v[110:111]
	v_add_f64 v[10:11], v[10:11], v[132:133]
	;; [unrolled: 1-line block ×3, first 2 shown]
	v_fma_f64 v[28:29], v[148:149], s[36:37], v[100:101]
	v_add_f64 v[100:101], v[2:3], v[6:7]
	v_add_f64 v[2:3], v[2:3], -v[6:7]
	v_fma_f64 v[8:9], v[148:149], s[22:23], v[12:13]
	v_fma_f64 v[12:13], v[148:149], s[26:27], v[12:13]
	v_add_f64 v[24:25], v[24:25], v[144:145]
	v_add_f64 v[28:29], v[28:29], v[146:147]
	v_mul_f64 v[106:107], v[100:101], s[30:31]
	v_mul_f64 v[4:5], v[2:3], s[28:29]
	;; [unrolled: 1-line block ×3, first 2 shown]
	v_add_f64 v[12:13], v[12:13], v[112:113]
	v_add_f64 v[8:9], v[8:9], v[114:115]
	v_fma_f64 v[102:103], v[0:1], s[34:35], v[106:107]
	v_fma_f64 v[6:7], v[98:99], s[30:31], v[4:5]
	v_fma_f64 v[4:5], v[98:99], s[30:31], -v[4:5]
	v_add_f64 v[102:103], v[102:103], v[154:155]
	v_add_f64 v[6:7], v[6:7], v[152:153]
	;; [unrolled: 1-line block ×3, first 2 shown]
	v_fma_f64 v[4:5], v[0:1], s[28:29], v[106:107]
	v_add_f64 v[106:107], v[4:5], v[158:159]
	v_fma_f64 v[4:5], v[98:99], s[38:39], v[110:111]
	v_fma_f64 v[110:111], v[98:99], s[38:39], -v[110:111]
	v_add_f64 v[4:5], v[4:5], v[108:109]
	v_mul_f64 v[108:109], v[100:101], s[38:39]
	v_add_f64 v[94:95], v[110:111], v[94:95]
	v_fma_f64 v[112:113], v[0:1], s[36:37], v[108:109]
	v_fma_f64 v[108:109], v[0:1], s[40:41], v[108:109]
	v_add_f64 v[92:93], v[112:113], v[92:93]
	v_add_f64 v[96:97], v[108:109], v[96:97]
	v_mul_f64 v[108:109], v[2:3], s[26:27]
	v_fma_f64 v[110:111], v[98:99], s[24:25], v[108:109]
	v_fma_f64 v[108:109], v[98:99], s[24:25], -v[108:109]
	v_add_f64 v[90:91], v[110:111], v[90:91]
	v_mul_f64 v[110:111], v[100:101], s[24:25]
	v_add_f64 v[86:87], v[108:109], v[86:87]
	v_fma_f64 v[108:109], v[0:1], s[26:27], v[110:111]
	v_fma_f64 v[112:113], v[0:1], s[22:23], v[110:111]
	v_add_f64 v[88:89], v[108:109], v[88:89]
	v_mul_f64 v[108:109], v[2:3], s[2:3]
	v_add_f64 v[84:85], v[112:113], v[84:85]
	v_fma_f64 v[110:111], v[98:99], s[8:9], v[108:109]
	v_fma_f64 v[108:109], v[98:99], s[8:9], -v[108:109]
	v_add_f64 v[30:31], v[110:111], v[30:31]
	v_mul_f64 v[110:111], v[100:101], s[8:9]
	v_add_f64 v[10:11], v[108:109], v[10:11]
	v_fma_f64 v[108:109], v[0:1], s[2:3], v[110:111]
	v_fma_f64 v[112:113], v[0:1], s[10:11], v[110:111]
	v_add_f64 v[12:13], v[108:109], v[12:13]
	v_mul_f64 v[108:109], v[2:3], s[46:47]
	v_mul_f64 v[2:3], v[2:3], s[20:21]
	v_add_f64 v[8:9], v[112:113], v[8:9]
	v_fma_f64 v[110:111], v[98:99], s[44:45], v[108:109]
	v_fma_f64 v[108:109], v[98:99], s[44:45], -v[108:109]
	v_add_f64 v[14:15], v[110:111], v[14:15]
	v_mul_f64 v[110:111], v[100:101], s[44:45]
	v_add_f64 v[18:19], v[108:109], v[18:19]
	v_mul_f64 v[100:101], v[100:101], s[18:19]
	v_fma_f64 v[108:109], v[0:1], s[46:47], v[110:111]
	v_fma_f64 v[112:113], v[0:1], s[42:43], v[110:111]
	v_add_f64 v[20:21], v[108:109], v[20:21]
	v_fma_f64 v[108:109], v[98:99], s[18:19], v[2:3]
	v_fma_f64 v[2:3], v[98:99], s[18:19], -v[2:3]
	v_add_f64 v[16:17], v[112:113], v[16:17]
	v_add_f64 v[22:23], v[108:109], v[22:23]
	v_fma_f64 v[108:109], v[0:1], s[16:17], v[100:101]
	v_fma_f64 v[0:1], v[0:1], s[20:21], v[100:101]
	v_add_f64 v[2:3], v[2:3], v[26:27]
	v_add_f64 v[26:27], v[80:81], v[82:83]
	v_add_f64 v[80:81], v[80:81], -v[82:83]
	v_add_f64 v[24:25], v[108:109], v[24:25]
	v_add_f64 v[0:1], v[0:1], v[28:29]
	v_add_f64 v[28:29], v[78:79], v[70:71]
	v_add_f64 v[70:71], v[78:79], -v[70:71]
	v_mul_f64 v[78:79], v[70:71], s[36:37]
	v_fma_f64 v[82:83], v[26:27], s[38:39], v[78:79]
	v_fma_f64 v[78:79], v[26:27], s[38:39], -v[78:79]
	v_add_f64 v[82:83], v[82:83], v[6:7]
	v_mul_f64 v[6:7], v[28:29], s[38:39]
	v_add_f64 v[78:79], v[78:79], v[104:105]
	v_fma_f64 v[98:99], v[80:81], s[40:41], v[6:7]
	v_fma_f64 v[6:7], v[80:81], s[36:37], v[6:7]
	v_add_f64 v[98:99], v[98:99], v[102:103]
	v_add_f64 v[100:101], v[6:7], v[106:107]
	v_mul_f64 v[6:7], v[70:71], s[10:11]
	v_fma_f64 v[102:103], v[26:27], s[8:9], v[6:7]
	v_fma_f64 v[6:7], v[26:27], s[8:9], -v[6:7]
	v_add_f64 v[102:103], v[102:103], v[4:5]
	v_mul_f64 v[4:5], v[28:29], s[8:9]
	v_add_f64 v[94:95], v[6:7], v[94:95]
	v_fma_f64 v[104:105], v[80:81], s[2:3], v[4:5]
	v_fma_f64 v[4:5], v[80:81], s[10:11], v[4:5]
	v_add_f64 v[92:93], v[104:105], v[92:93]
	v_add_f64 v[96:97], v[4:5], v[96:97]
	v_mul_f64 v[4:5], v[70:71], s[16:17]
	v_fma_f64 v[6:7], v[26:27], s[18:19], v[4:5]
	v_fma_f64 v[4:5], v[26:27], s[18:19], -v[4:5]
	v_add_f64 v[90:91], v[6:7], v[90:91]
	v_mul_f64 v[6:7], v[28:29], s[18:19]
	v_add_f64 v[86:87], v[4:5], v[86:87]
	v_fma_f64 v[4:5], v[80:81], s[16:17], v[6:7]
	v_fma_f64 v[104:105], v[80:81], s[20:21], v[6:7]
	v_add_f64 v[88:89], v[4:5], v[88:89]
	v_mul_f64 v[4:5], v[70:71], s[46:47]
	v_add_f64 v[84:85], v[104:105], v[84:85]
	v_fma_f64 v[6:7], v[26:27], s[44:45], v[4:5]
	v_fma_f64 v[4:5], v[26:27], s[44:45], -v[4:5]
	v_add_f64 v[30:31], v[6:7], v[30:31]
	v_mul_f64 v[6:7], v[28:29], s[44:45]
	v_add_f64 v[106:107], v[4:5], v[10:11]
	v_fma_f64 v[4:5], v[80:81], s[46:47], v[6:7]
	v_fma_f64 v[104:105], v[80:81], s[42:43], v[6:7]
	v_add_f64 v[108:109], v[4:5], v[12:13]
	v_mul_f64 v[4:5], v[70:71], s[26:27]
	v_add_f64 v[104:105], v[104:105], v[8:9]
	v_fma_f64 v[6:7], v[26:27], s[24:25], v[4:5]
	v_fma_f64 v[4:5], v[26:27], s[24:25], -v[4:5]
	v_add_f64 v[110:111], v[6:7], v[14:15]
	v_mul_f64 v[6:7], v[28:29], s[24:25]
	v_add_f64 v[114:115], v[4:5], v[18:19]
	v_mul_f64 v[14:15], v[138:139], s[42:43]
	v_mul_f64 v[18:19], v[138:139], s[26:27]
	v_fma_f64 v[4:5], v[80:81], s[26:27], v[6:7]
	v_fma_f64 v[8:9], v[80:81], s[22:23], v[6:7]
	v_add_f64 v[132:133], v[4:5], v[20:21]
	v_mul_f64 v[4:5], v[70:71], s[28:29]
	v_add_f64 v[112:113], v[8:9], v[16:17]
	v_mul_f64 v[16:17], v[136:137], s[44:45]
	v_mul_f64 v[20:21], v[136:137], s[24:25]
	v_fma_f64 v[6:7], v[26:27], s[30:31], v[4:5]
	v_fma_f64 v[4:5], v[26:27], s[30:31], -v[4:5]
	v_mul_f64 v[26:27], v[138:139], s[20:21]
	v_add_f64 v[134:135], v[6:7], v[22:23]
	v_mul_f64 v[6:7], v[28:29], s[30:31]
	v_add_f64 v[4:5], v[4:5], v[2:3]
	v_mul_f64 v[22:23], v[138:139], s[36:37]
	v_mul_f64 v[28:29], v[136:137], s[18:19]
	v_fma_f64 v[8:9], v[80:81], s[34:35], v[6:7]
	v_fma_f64 v[2:3], v[80:81], s[28:29], v[6:7]
	v_add_f64 v[6:7], v[76:77], v[74:75]
	v_add_f64 v[8:9], v[8:9], v[24:25]
	;; [unrolled: 1-line block ×3, first 2 shown]
	v_add_f64 v[2:3], v[76:77], -v[74:75]
	v_fma_f64 v[10:11], v[6:7], s[44:45], v[14:15]
	v_fma_f64 v[14:15], v[6:7], s[44:45], -v[14:15]
	v_mul_f64 v[24:25], v[136:137], s[38:39]
	v_fma_f64 v[12:13], v[2:3], s[46:47], v[16:17]
	v_add_f64 v[10:11], v[10:11], v[82:83]
	v_add_f64 v[72:73], v[14:15], v[78:79]
	v_fma_f64 v[14:15], v[2:3], s[42:43], v[16:17]
	v_fma_f64 v[16:17], v[2:3], s[22:23], v[20:21]
	v_add_f64 v[12:13], v[12:13], v[98:99]
	v_add_f64 v[74:75], v[14:15], v[100:101]
	v_fma_f64 v[14:15], v[6:7], s[24:25], v[18:19]
	v_fma_f64 v[18:19], v[6:7], s[24:25], -v[18:19]
	v_add_f64 v[16:17], v[16:17], v[92:93]
	v_mul_f64 v[92:93], v[136:137], s[8:9]
	v_add_f64 v[14:15], v[14:15], v[102:103]
	v_add_f64 v[76:77], v[18:19], v[94:95]
	v_fma_f64 v[18:19], v[2:3], s[26:27], v[20:21]
	v_fma_f64 v[20:21], v[2:3], s[40:41], v[24:25]
	v_add_f64 v[78:79], v[18:19], v[96:97]
	v_fma_f64 v[18:19], v[6:7], s[38:39], v[22:23]
	v_fma_f64 v[22:23], v[6:7], s[38:39], -v[22:23]
	v_add_f64 v[20:21], v[20:21], v[84:85]
	v_add_f64 v[18:19], v[18:19], v[90:91]
	;; [unrolled: 1-line block ×3, first 2 shown]
	v_fma_f64 v[22:23], v[2:3], s[36:37], v[24:25]
	v_mul_f64 v[86:87], v[136:137], s[30:31]
	v_fma_f64 v[24:25], v[2:3], s[16:17], v[28:29]
	v_fma_f64 v[90:91], v[2:3], s[2:3], v[92:93]
	v_add_f64 v[82:83], v[22:23], v[88:89]
	v_fma_f64 v[22:23], v[6:7], s[18:19], v[26:27]
	v_fma_f64 v[26:27], v[6:7], s[18:19], -v[26:27]
	v_add_f64 v[24:25], v[24:25], v[104:105]
	v_add_f64 v[90:91], v[90:91], v[8:9]
	;; [unrolled: 1-line block ×4, first 2 shown]
	v_fma_f64 v[26:27], v[2:3], s[20:21], v[28:29]
	v_mul_f64 v[30:31], v[138:139], s[28:29]
	v_fma_f64 v[28:29], v[2:3], s[34:35], v[86:87]
	v_add_f64 v[70:71], v[26:27], v[108:109]
	v_fma_f64 v[26:27], v[6:7], s[30:31], v[30:31]
	v_fma_f64 v[30:31], v[6:7], s[30:31], -v[30:31]
	v_add_f64 v[28:29], v[28:29], v[112:113]
	v_add_f64 v[26:27], v[26:27], v[110:111]
	;; [unrolled: 1-line block ×3, first 2 shown]
	v_fma_f64 v[30:31], v[2:3], s[28:29], v[86:87]
	v_fma_f64 v[2:3], v[2:3], s[10:11], v[92:93]
	v_add_f64 v[86:87], v[30:31], v[132:133]
	v_mul_f64 v[30:31], v[138:139], s[10:11]
	v_fma_f64 v[88:89], v[6:7], s[8:9], v[30:31]
	v_fma_f64 v[6:7], v[6:7], s[8:9], -v[30:31]
	v_add_f64 v[88:89], v[88:89], v[134:135]
	v_add_f64 v[4:5], v[6:7], v[4:5]
	;; [unrolled: 1-line block ×3, first 2 shown]
	ds_write_b128 v200, v[64:67]
	ds_write_b128 v200, v[10:13] offset:272
	ds_write_b128 v200, v[14:17] offset:544
	;; [unrolled: 1-line block ×12, first 2 shown]
	s_waitcnt lgkmcnt(0)
	s_barrier
	buffer_gl0_inv
	ds_read_b128 v[64:67], v255
	ds_read_b128 v[112:115], v255 offset:3536
	ds_read_b128 v[92:95], v255 offset:7072
	;; [unrolled: 1-line block ×8, first 2 shown]
	s_and_saveexec_b32 s1, s0
	s_cbranch_execz .LBB0_19
; %bb.18:
	ds_read_b128 v[68:71], v255 offset:2448
	ds_read_b128 v[80:83], v255 offset:5984
	;; [unrolled: 1-line block ×9, first 2 shown]
	s_waitcnt lgkmcnt(0)
	buffer_store_dword v0, off, s[60:63], 0 offset:12 ; 4-byte Folded Spill
	buffer_store_dword v1, off, s[60:63], 0 offset:16 ; 4-byte Folded Spill
	;; [unrolled: 1-line block ×4, first 2 shown]
.LBB0_19:
	s_or_b32 exec_lo, exec_lo, s1
	s_waitcnt lgkmcnt(7)
	v_mul_f64 v[0:1], v[46:47], v[114:115]
	v_mul_f64 v[2:3], v[46:47], v[112:113]
	s_waitcnt lgkmcnt(4)
	v_mul_f64 v[4:5], v[50:51], v[110:111]
	s_waitcnt lgkmcnt(0)
	v_mul_f64 v[6:7], v[58:59], v[134:135]
	v_mul_f64 v[8:9], v[58:59], v[132:133]
	;; [unrolled: 1-line block ×13, first 2 shown]
	s_mov_b32 s2, 0x523c161c
	s_mov_b32 s8, 0x8c811c17
	;; [unrolled: 1-line block ×6, first 2 shown]
	v_fma_f64 v[0:1], v[44:45], v[112:113], v[0:1]
	v_fma_f64 v[2:3], v[44:45], v[114:115], -v[2:3]
	v_fma_f64 v[4:5], v[48:49], v[108:109], v[4:5]
	v_fma_f64 v[6:7], v[56:57], v[132:133], v[6:7]
	v_fma_f64 v[8:9], v[56:57], v[134:135], -v[8:9]
	v_fma_f64 v[10:11], v[48:49], v[110:111], -v[10:11]
	v_fma_f64 v[12:13], v[52:53], v[104:105], v[12:13]
	v_fma_f64 v[14:15], v[52:53], v[106:107], -v[14:15]
	v_fma_f64 v[16:17], v[40:41], v[92:93], v[16:17]
	;; [unrolled: 2-line block ×3, first 2 shown]
	v_fma_f64 v[22:23], v[60:61], v[102:103], -v[22:23]
	s_mov_b32 s17, 0xbfe491b7
	s_mov_b32 s16, s2
	;; [unrolled: 1-line block ×12, first 2 shown]
	v_add_f64 v[34:35], v[0:1], -v[6:7]
	v_add_f64 v[38:39], v[2:3], -v[8:9]
	v_add_f64 v[0:1], v[0:1], v[6:7]
	v_add_f64 v[6:7], v[4:5], -v[12:13]
	v_add_f64 v[40:41], v[10:11], -v[14:15]
	v_add_f64 v[42:43], v[4:5], v[12:13]
	v_add_f64 v[48:49], v[10:11], v[14:15]
	v_add_f64 v[44:45], v[16:17], v[20:21]
	v_add_f64 v[46:47], v[18:19], v[22:23]
	v_add_f64 v[2:3], v[2:3], v[8:9]
	v_fma_f64 v[8:9], v[32:33], v[84:85], v[24:25]
	v_fma_f64 v[24:25], v[32:33], v[86:87], -v[26:27]
	v_fma_f64 v[26:27], v[36:37], v[88:89], v[28:29]
	v_fma_f64 v[28:29], v[36:37], v[90:91], -v[30:31]
	v_add_f64 v[16:17], v[16:17], -v[20:21]
	v_add_f64 v[18:19], v[18:19], -v[22:23]
	v_mul_f64 v[20:21], v[34:35], s[2:3]
	v_mul_f64 v[22:23], v[38:39], s[2:3]
	v_fma_f64 v[30:31], v[0:1], s[10:11], v[64:65]
	v_mul_f64 v[32:33], v[6:7], s[16:17]
	v_mul_f64 v[36:37], v[40:41], s[16:17]
	v_fma_f64 v[50:51], v[42:43], s[10:11], v[64:65]
	;; [unrolled: 3-line block ×3, first 2 shown]
	v_fma_f64 v[58:59], v[46:47], s[10:11], v[66:67]
	v_fma_f64 v[60:61], v[48:49], s[10:11], v[66:67]
	;; [unrolled: 1-line block ×3, first 2 shown]
	v_add_f64 v[84:85], v[8:9], v[26:27]
	v_add_f64 v[86:87], v[24:25], v[28:29]
	v_add_f64 v[88:89], v[44:45], v[0:1]
	v_add_f64 v[90:91], v[46:47], v[2:3]
	v_add_f64 v[8:9], v[8:9], -v[26:27]
	v_add_f64 v[24:25], v[24:25], -v[28:29]
	v_fma_f64 v[20:21], v[16:17], s[8:9], v[20:21]
	v_fma_f64 v[22:23], v[18:19], s[8:9], v[22:23]
	;; [unrolled: 1-line block ×6, first 2 shown]
	v_fma_f64 v[36:37], v[16:17], s[16:17], -v[52:53]
	v_fma_f64 v[50:51], v[18:19], s[16:17], -v[54:55]
	v_fma_f64 v[52:53], v[42:43], s[22:23], v[56:57]
	v_fma_f64 v[54:55], v[48:49], s[22:23], v[58:59]
	;; [unrolled: 1-line block ×4, first 2 shown]
	v_add_f64 v[60:61], v[6:7], v[34:35]
	v_add_f64 v[62:63], v[40:41], v[38:39]
	;; [unrolled: 1-line block ×8, first 2 shown]
	v_fma_f64 v[20:21], v[8:9], s[18:19], v[20:21]
	v_fma_f64 v[22:23], v[24:25], s[18:19], v[22:23]
	v_fma_f64 v[26:27], v[84:85], -0.5, v[26:27]
	v_fma_f64 v[28:29], v[8:9], s[20:21], v[28:29]
	v_fma_f64 v[30:31], v[24:25], s[20:21], v[30:31]
	v_fma_f64 v[32:33], v[84:85], -0.5, v[32:33]
	v_fma_f64 v[8:9], v[8:9], s[18:19], v[36:37]
	v_fma_f64 v[24:25], v[24:25], s[18:19], v[50:51]
	v_fma_f64 v[36:37], v[84:85], -0.5, v[52:53]
	v_fma_f64 v[50:51], v[86:87], -0.5, v[54:55]
	v_fma_f64 v[52:53], v[86:87], -0.5, v[56:57]
	;; [unrolled: 1-line block ×3, first 2 shown]
	v_add_f64 v[56:57], v[60:61], -v[16:17]
	v_add_f64 v[58:59], v[62:63], -v[18:19]
	v_add_f64 v[4:5], v[4:5], v[88:89]
	v_add_f64 v[10:11], v[10:11], v[90:91]
	v_fma_f64 v[60:61], v[96:97], -0.5, v[92:93]
	v_fma_f64 v[62:63], v[98:99], -0.5, v[94:95]
	v_fma_f64 v[84:85], v[6:7], s[24:25], v[20:21]
	v_fma_f64 v[40:41], v[40:41], s[24:25], v[22:23]
	;; [unrolled: 1-line block ×12, first 2 shown]
	v_mul_f64 v[34:35], v[56:57], s[18:19]
	v_mul_f64 v[36:37], v[58:59], s[18:19]
	v_add_f64 v[38:39], v[12:13], v[4:5]
	v_add_f64 v[42:43], v[14:15], v[10:11]
	v_fma_f64 v[0:1], v[58:59], s[20:21], v[60:61]
	v_fma_f64 v[2:3], v[56:57], s[18:19], v[62:63]
	v_add_f64 v[4:5], v[6:7], -v[40:41]
	v_add_f64 v[8:9], v[16:17], -v[28:29]
	;; [unrolled: 1-line block ×3, first 2 shown]
	v_add_f64 v[14:15], v[30:31], v[20:21]
	v_add_f64 v[10:11], v[26:27], v[22:23]
	;; [unrolled: 1-line block ×5, first 2 shown]
	v_fma_f64 v[16:17], v[36:37], 2.0, v[0:1]
	v_fma_f64 v[18:19], v[34:35], -2.0, v[2:3]
	v_fma_f64 v[24:25], v[40:41], 2.0, v[4:5]
	v_fma_f64 v[28:29], v[28:29], 2.0, v[8:9]
	;; [unrolled: 1-line block ×3, first 2 shown]
	v_fma_f64 v[34:35], v[30:31], -2.0, v[14:15]
	v_fma_f64 v[30:31], v[26:27], -2.0, v[10:11]
	;; [unrolled: 1-line block ×3, first 2 shown]
	ds_write_b128 v255, v[0:3] offset:10608
	ds_write_b128 v255, v[20:23]
	ds_write_b128 v255, v[4:7] offset:3536
	ds_write_b128 v255, v[8:11] offset:7072
	ds_write_b128 v255, v[12:15] offset:14144
	ds_write_b128 v255, v[16:19] offset:21216
	ds_write_b128 v255, v[32:35] offset:17680
	ds_write_b128 v255, v[28:31] offset:24752
	ds_write_b128 v255, v[24:27] offset:28288
	s_and_saveexec_b32 s1, s0
	s_cbranch_execz .LBB0_21
; %bb.20:
	s_clause 0x13
	buffer_load_dword v32, off, s[60:63], 0 offset:92
	buffer_load_dword v33, off, s[60:63], 0 offset:96
	buffer_load_dword v34, off, s[60:63], 0 offset:100
	buffer_load_dword v35, off, s[60:63], 0 offset:104
	buffer_load_dword v28, off, s[60:63], 0 offset:76
	buffer_load_dword v29, off, s[60:63], 0 offset:80
	buffer_load_dword v30, off, s[60:63], 0 offset:84
	buffer_load_dword v31, off, s[60:63], 0 offset:88
	buffer_load_dword v36, off, s[60:63], 0 offset:108
	buffer_load_dword v37, off, s[60:63], 0 offset:112
	buffer_load_dword v38, off, s[60:63], 0 offset:116
	buffer_load_dword v39, off, s[60:63], 0 offset:120
	buffer_load_dword v42, off, s[60:63], 0 offset:140
	buffer_load_dword v43, off, s[60:63], 0 offset:144
	buffer_load_dword v44, off, s[60:63], 0 offset:148
	buffer_load_dword v45, off, s[60:63], 0 offset:152
	buffer_load_dword v24, off, s[60:63], 0 offset:28
	buffer_load_dword v25, off, s[60:63], 0 offset:32
	buffer_load_dword v26, off, s[60:63], 0 offset:36
	buffer_load_dword v27, off, s[60:63], 0 offset:40
	s_waitcnt vmcnt(16)
	v_mul_f64 v[0:1], v[34:35], v[78:79]
	s_waitcnt vmcnt(12)
	v_mul_f64 v[2:3], v[30:31], v[130:131]
	;; [unrolled: 2-line block ×4, first 2 shown]
	v_mul_f64 v[10:11], v[38:39], v[124:125]
	v_mul_f64 v[14:15], v[44:45], v[118:119]
	s_clause 0xf
	buffer_load_dword v38, off, s[60:63], 0 offset:124
	buffer_load_dword v39, off, s[60:63], 0 offset:128
	;; [unrolled: 1-line block ×16, first 2 shown]
	v_mul_f64 v[8:9], v[34:35], v[76:77]
	v_mul_f64 v[12:13], v[30:31], v[128:129]
	s_waitcnt vmcnt(16)
	v_mul_f64 v[16:17], v[26:27], v[82:83]
	v_mul_f64 v[22:23], v[26:27], v[80:81]
	v_fma_f64 v[0:1], v[32:33], v[76:77], v[0:1]
	v_fma_f64 v[2:3], v[28:29], v[128:129], v[2:3]
	;; [unrolled: 1-line block ×3, first 2 shown]
	v_fma_f64 v[6:7], v[42:43], v[118:119], -v[6:7]
	v_fma_f64 v[10:11], v[36:37], v[126:127], -v[10:11]
	v_fma_f64 v[14:15], v[42:43], v[116:117], v[14:15]
	v_fma_f64 v[8:9], v[32:33], v[78:79], -v[8:9]
	v_fma_f64 v[12:13], v[28:29], v[130:131], -v[12:13]
	v_fma_f64 v[16:17], v[24:25], v[80:81], v[16:17]
	v_fma_f64 v[22:23], v[24:25], v[82:83], -v[22:23]
	v_add_f64 v[32:33], v[2:3], -v[4:5]
	v_add_f64 v[42:43], v[2:3], v[4:5]
	v_add_f64 v[34:35], v[8:9], v[6:7]
	v_add_f64 v[36:37], v[12:13], -v[10:11]
	v_add_f64 v[6:7], v[8:9], -v[6:7]
	v_mul_f64 v[8:9], v[32:33], s[8:9]
	s_waitcnt vmcnt(8)
	v_mul_f64 v[18:19], v[40:41], v[46:47]
	v_mul_f64 v[20:21], v[40:41], v[44:45]
	s_waitcnt vmcnt(4)
	v_mul_f64 v[24:25], v[50:51], v[74:75]
	s_waitcnt vmcnt(0)
	v_mul_f64 v[26:27], v[54:55], v[120:121]
	v_mul_f64 v[28:29], v[50:51], v[72:73]
	;; [unrolled: 1-line block ×3, first 2 shown]
	v_add_f64 v[40:41], v[12:13], v[10:11]
	v_mul_f64 v[54:55], v[36:37], s[16:17]
	v_fma_f64 v[18:19], v[38:39], v[44:45], v[18:19]
	v_fma_f64 v[20:21], v[38:39], v[46:47], -v[20:21]
	v_add_f64 v[38:39], v[0:1], v[14:15]
	v_add_f64 v[0:1], v[0:1], -v[14:15]
	v_fma_f64 v[14:15], v[34:35], s[10:11], v[70:71]
	v_fma_f64 v[50:51], v[40:41], s[10:11], v[70:71]
	v_add_f64 v[44:45], v[16:17], -v[18:19]
	v_add_f64 v[46:47], v[22:23], v[20:21]
	v_add_f64 v[16:17], v[16:17], v[18:19]
	v_add_f64 v[18:19], v[22:23], -v[20:21]
	v_fma_f64 v[20:21], v[48:49], v[72:73], v[24:25]
	v_fma_f64 v[22:23], v[52:53], v[122:123], -v[26:27]
	v_fma_f64 v[24:25], v[48:49], v[74:75], -v[28:29]
	v_fma_f64 v[26:27], v[52:53], v[120:121], v[30:31]
	v_mul_f64 v[28:29], v[36:37], s[8:9]
	v_fma_f64 v[30:31], v[38:39], s[10:11], v[68:69]
	v_mul_f64 v[48:49], v[32:33], s[16:17]
	v_fma_f64 v[52:53], v[42:43], s[10:11], v[68:69]
	v_fma_f64 v[8:9], v[0:1], s[16:17], -v[8:9]
	v_fma_f64 v[14:15], v[40:41], s[22:23], v[14:15]
	v_mul_f64 v[56:57], v[44:45], s[2:3]
	v_fma_f64 v[58:59], v[46:47], s[10:11], v[70:71]
	v_fma_f64 v[60:61], v[16:17], s[10:11], v[68:69]
	v_mul_f64 v[62:63], v[18:19], s[2:3]
	v_add_f64 v[72:73], v[34:35], v[46:47]
	v_add_f64 v[74:75], v[38:39], v[16:17]
	;; [unrolled: 1-line block ×4, first 2 shown]
	v_add_f64 v[20:21], v[20:21], -v[26:27]
	v_add_f64 v[22:23], v[24:25], -v[22:23]
	v_fma_f64 v[24:25], v[6:7], s[16:17], -v[28:29]
	v_fma_f64 v[26:27], v[42:43], s[22:23], v[30:31]
	v_fma_f64 v[28:29], v[44:45], s[8:9], v[48:49]
	;; [unrolled: 1-line block ×5, first 2 shown]
	v_add_f64 v[78:79], v[36:37], v[18:19]
	v_fma_f64 v[52:53], v[0:1], s[8:9], v[56:57]
	v_fma_f64 v[54:55], v[34:35], s[22:23], v[58:59]
	;; [unrolled: 1-line block ×4, first 2 shown]
	v_add_f64 v[60:61], v[32:33], v[44:45]
	v_add_f64 v[80:81], v[64:65], v[72:73]
	;; [unrolled: 1-line block ×7, first 2 shown]
	v_fma_f64 v[8:9], v[20:21], s[18:19], v[8:9]
	v_fma_f64 v[14:15], v[64:65], -0.5, v[14:15]
	v_fma_f64 v[24:25], v[22:23], s[18:19], v[24:25]
	v_fma_f64 v[26:27], v[66:67], -0.5, v[26:27]
	v_fma_f64 v[28:29], v[20:21], s[20:21], v[28:29]
	v_fma_f64 v[30:31], v[64:65], -0.5, v[30:31]
	v_fma_f64 v[48:49], v[66:67], -0.5, v[48:49]
	v_fma_f64 v[50:51], v[22:23], s[20:21], v[50:51]
	v_fma_f64 v[20:21], v[20:21], s[18:19], v[52:53]
	v_fma_f64 v[52:53], v[64:65], -0.5, v[54:55]
	v_fma_f64 v[54:55], v[66:67], -0.5, v[56:57]
	v_fma_f64 v[22:23], v[22:23], s[18:19], v[58:59]
	v_add_f64 v[56:57], v[60:61], -v[0:1]
	v_add_f64 v[58:59], v[78:79], -v[6:7]
	v_add_f64 v[12:13], v[12:13], v[80:81]
	v_add_f64 v[2:3], v[2:3], v[82:83]
	v_fma_f64 v[60:61], v[72:73], -0.5, v[62:63]
	v_fma_f64 v[62:63], v[74:75], -0.5, v[76:77]
	v_fma_f64 v[44:45], v[44:45], s[24:25], v[8:9]
	v_fma_f64 v[8:9], v[46:47], s[26:27], v[14:15]
	;; [unrolled: 1-line block ×12, first 2 shown]
	v_mul_f64 v[22:23], v[56:57], s[18:19]
	v_mul_f64 v[30:31], v[58:59], s[18:19]
	v_add_f64 v[38:39], v[10:11], v[12:13]
	v_add_f64 v[40:41], v[4:5], v[2:3]
	v_fma_f64 v[2:3], v[56:57], s[18:19], v[60:61]
	v_fma_f64 v[0:1], v[58:59], s[20:21], v[62:63]
	v_add_f64 v[6:7], v[44:45], v[8:9]
	v_add_f64 v[4:5], v[14:15], -v[24:25]
	v_add_f64 v[10:11], v[28:29], v[16:17]
	v_add_f64 v[8:9], v[18:19], -v[34:35]
	;; [unrolled: 2-line block ×3, first 2 shown]
	v_add_f64 v[18:19], v[70:71], v[38:39]
	v_add_f64 v[16:17], v[68:69], v[40:41]
	v_fma_f64 v[22:23], v[22:23], -2.0, v[2:3]
	v_fma_f64 v[20:21], v[30:31], 2.0, v[0:1]
	v_fma_f64 v[26:27], v[44:45], -2.0, v[6:7]
	v_fma_f64 v[24:25], v[24:25], 2.0, v[4:5]
	;; [unrolled: 2-line block ×4, first 2 shown]
	ds_write_b128 v255, v[0:3] offset:13056
	ds_write_b128 v255, v[16:19] offset:2448
	ds_write_b128 v255, v[12:15] offset:5984
	ds_write_b128 v255, v[8:11] offset:9520
	ds_write_b128 v255, v[4:7] offset:16592
	ds_write_b128 v255, v[20:23] offset:23664
	ds_write_b128 v255, v[24:27] offset:20128
	ds_write_b128 v255, v[28:31] offset:27200
	ds_write_b128 v255, v[32:35] offset:30736
.LBB0_21:
	s_or_b32 exec_lo, exec_lo, s1
	s_waitcnt lgkmcnt(0)
	s_waitcnt_vscnt null, 0x0
	s_barrier
	buffer_gl0_inv
	s_and_b32 exec_lo, exec_lo, vcc_lo
	s_cbranch_execz .LBB0_23
; %bb.22:
	global_load_dwordx4 v[0:3], v255, s[12:13]
	ds_read_b128 v[4:7], v255
	ds_read_b128 v[8:11], v255 offset:1872
	ds_read_b128 v[12:15], v255 offset:29952
	s_clause 0x2
	buffer_load_dword v18, off, s[60:63], 0 offset:4
	buffer_load_dword v19, off, s[60:63], 0 offset:8
	buffer_load_dword v21, off, s[60:63], 0
	s_mov_b32 s0, 0x10798010
	s_mov_b32 s1, 0x3f407980
	s_mul_i32 s3, s4, 0x750
	s_waitcnt vmcnt(3) lgkmcnt(2)
	v_mul_f64 v[16:17], v[6:7], v[2:3]
	v_mul_f64 v[2:3], v[4:5], v[2:3]
	s_waitcnt vmcnt(2)
	v_mov_b32_e32 v20, v18
	s_waitcnt vmcnt(1)
	v_mad_u64_u32 v[18:19], null, s6, v20, 0
	v_fma_f64 v[4:5], v[4:5], v[0:1], v[16:17]
	v_fma_f64 v[2:3], v[0:1], v[6:7], -v[2:3]
	s_waitcnt vmcnt(0)
	v_mad_u64_u32 v[6:7], null, s4, v21, 0
	v_mov_b32_e32 v0, v19
	v_mov_b32_e32 v1, v7
	v_mad_u64_u32 v[16:17], null, s7, v20, v[0:1]
	v_mov_b32_e32 v19, v16
	v_mad_u64_u32 v[20:21], null, s5, v21, v[1:2]
	v_mul_f64 v[0:1], v[4:5], s[0:1]
	v_mul_f64 v[2:3], v[2:3], s[0:1]
	v_lshlrev_b64 v[4:5], 4, v[18:19]
	v_mov_b32_e32 v7, v20
	v_add_co_u32 v20, s2, s12, v255
	v_add_co_u32 v4, vcc_lo, s14, v4
	v_lshlrev_b64 v[6:7], 4, v[6:7]
	v_add_co_ci_u32_e32 v5, vcc_lo, s15, v5, vcc_lo
	v_add_co_ci_u32_e64 v21, null, s13, 0, s2
	s_mul_i32 s2, s5, 0x750
	v_add_co_u32 v4, vcc_lo, v4, v6
	v_add_co_ci_u32_e32 v5, vcc_lo, v5, v7, vcc_lo
	s_mul_hi_u32 s5, s4, 0x750
	v_add_co_u32 v16, vcc_lo, v4, s3
	global_store_dwordx4 v[4:5], v[0:3], off
	global_load_dwordx4 v[0:3], v255, s[12:13] offset:1872
	s_add_i32 s2, s5, s2
	v_add_co_ci_u32_e32 v17, vcc_lo, s2, v5, vcc_lo
	v_add_co_u32 v4, vcc_lo, 0x800, v20
	v_add_co_ci_u32_e32 v5, vcc_lo, 0, v21, vcc_lo
	s_waitcnt vmcnt(0) lgkmcnt(1)
	v_mul_f64 v[6:7], v[10:11], v[2:3]
	v_mul_f64 v[2:3], v[8:9], v[2:3]
	v_fma_f64 v[6:7], v[8:9], v[0:1], v[6:7]
	v_fma_f64 v[2:3], v[0:1], v[10:11], -v[2:3]
	v_mul_f64 v[0:1], v[6:7], s[0:1]
	v_mul_f64 v[2:3], v[2:3], s[0:1]
	global_store_dwordx4 v[16:17], v[0:3], off
	global_load_dwordx4 v[0:3], v[4:5], off offset:1696
	ds_read_b128 v[4:7], v255 offset:3744
	ds_read_b128 v[8:11], v255 offset:5616
	s_waitcnt vmcnt(0) lgkmcnt(1)
	v_mul_f64 v[18:19], v[6:7], v[2:3]
	v_mul_f64 v[2:3], v[4:5], v[2:3]
	v_fma_f64 v[4:5], v[4:5], v[0:1], v[18:19]
	v_fma_f64 v[2:3], v[0:1], v[6:7], -v[2:3]
	v_mul_f64 v[0:1], v[4:5], s[0:1]
	v_mul_f64 v[2:3], v[2:3], s[0:1]
	v_add_co_u32 v4, vcc_lo, v16, s3
	v_add_co_ci_u32_e32 v5, vcc_lo, s2, v17, vcc_lo
	v_add_co_u32 v6, vcc_lo, 0x1000, v20
	v_add_co_ci_u32_e32 v7, vcc_lo, 0, v21, vcc_lo
	v_add_co_u32 v16, vcc_lo, v4, s3
	v_add_co_ci_u32_e32 v17, vcc_lo, s2, v5, vcc_lo
	global_store_dwordx4 v[4:5], v[0:3], off
	global_load_dwordx4 v[0:3], v[6:7], off offset:1520
	v_add_co_u32 v4, vcc_lo, 0x1800, v20
	v_add_co_ci_u32_e32 v5, vcc_lo, 0, v21, vcc_lo
	s_waitcnt vmcnt(0) lgkmcnt(0)
	v_mul_f64 v[6:7], v[10:11], v[2:3]
	v_mul_f64 v[2:3], v[8:9], v[2:3]
	v_fma_f64 v[6:7], v[8:9], v[0:1], v[6:7]
	v_fma_f64 v[2:3], v[0:1], v[10:11], -v[2:3]
	v_mul_f64 v[0:1], v[6:7], s[0:1]
	v_mul_f64 v[2:3], v[2:3], s[0:1]
	global_store_dwordx4 v[16:17], v[0:3], off
	global_load_dwordx4 v[0:3], v[4:5], off offset:1344
	ds_read_b128 v[4:7], v255 offset:7488
	ds_read_b128 v[8:11], v255 offset:9360
	s_waitcnt vmcnt(0) lgkmcnt(1)
	v_mul_f64 v[18:19], v[6:7], v[2:3]
	v_mul_f64 v[2:3], v[4:5], v[2:3]
	v_fma_f64 v[4:5], v[4:5], v[0:1], v[18:19]
	v_fma_f64 v[2:3], v[0:1], v[6:7], -v[2:3]
	v_mul_f64 v[0:1], v[4:5], s[0:1]
	v_mul_f64 v[2:3], v[2:3], s[0:1]
	v_add_co_u32 v4, vcc_lo, v16, s3
	v_add_co_ci_u32_e32 v5, vcc_lo, s2, v17, vcc_lo
	v_add_co_u32 v6, vcc_lo, 0x2000, v20
	v_add_co_ci_u32_e32 v7, vcc_lo, 0, v21, vcc_lo
	v_add_co_u32 v16, vcc_lo, v4, s3
	v_add_co_ci_u32_e32 v17, vcc_lo, s2, v5, vcc_lo
	global_store_dwordx4 v[4:5], v[0:3], off
	global_load_dwordx4 v[0:3], v[6:7], off offset:1168
	;; [unrolled: 28-line block ×4, first 2 shown]
	v_add_co_u32 v4, vcc_lo, 0x4800, v20
	v_add_co_ci_u32_e32 v5, vcc_lo, 0, v21, vcc_lo
	s_waitcnt vmcnt(0) lgkmcnt(0)
	v_mul_f64 v[6:7], v[10:11], v[2:3]
	v_mul_f64 v[2:3], v[8:9], v[2:3]
	v_fma_f64 v[6:7], v[8:9], v[0:1], v[6:7]
	v_fma_f64 v[2:3], v[0:1], v[10:11], -v[2:3]
	v_mul_f64 v[0:1], v[6:7], s[0:1]
	v_mul_f64 v[2:3], v[2:3], s[0:1]
	global_store_dwordx4 v[16:17], v[0:3], off
	global_load_dwordx4 v[0:3], v[4:5], off offset:288
	ds_read_b128 v[4:7], v255 offset:18720
	ds_read_b128 v[8:11], v255 offset:20592
	s_waitcnt vmcnt(0) lgkmcnt(1)
	v_mul_f64 v[18:19], v[6:7], v[2:3]
	v_mul_f64 v[2:3], v[4:5], v[2:3]
	v_fma_f64 v[4:5], v[4:5], v[0:1], v[18:19]
	v_fma_f64 v[2:3], v[0:1], v[6:7], -v[2:3]
	v_mul_f64 v[0:1], v[4:5], s[0:1]
	v_mul_f64 v[2:3], v[2:3], s[0:1]
	v_add_co_u32 v4, vcc_lo, v16, s3
	v_add_co_ci_u32_e32 v5, vcc_lo, s2, v17, vcc_lo
	v_add_co_u32 v6, vcc_lo, 0x5000, v20
	v_add_co_ci_u32_e32 v7, vcc_lo, 0, v21, vcc_lo
	global_store_dwordx4 v[4:5], v[0:3], off
	global_load_dwordx4 v[0:3], v[6:7], off offset:112
	s_waitcnt vmcnt(0) lgkmcnt(0)
	v_mul_f64 v[16:17], v[10:11], v[2:3]
	v_mul_f64 v[2:3], v[8:9], v[2:3]
	v_fma_f64 v[8:9], v[8:9], v[0:1], v[16:17]
	v_fma_f64 v[2:3], v[0:1], v[10:11], -v[2:3]
	v_add_co_u32 v16, vcc_lo, v4, s3
	v_add_co_ci_u32_e32 v17, vcc_lo, s2, v5, vcc_lo
	v_mul_f64 v[0:1], v[8:9], s[0:1]
	v_mul_f64 v[2:3], v[2:3], s[0:1]
	global_store_dwordx4 v[16:17], v[0:3], off
	global_load_dwordx4 v[0:3], v[6:7], off offset:1984
	ds_read_b128 v[4:7], v255 offset:22464
	ds_read_b128 v[8:11], v255 offset:24336
	s_waitcnt vmcnt(0) lgkmcnt(1)
	v_mul_f64 v[18:19], v[6:7], v[2:3]
	v_mul_f64 v[2:3], v[4:5], v[2:3]
	v_fma_f64 v[4:5], v[4:5], v[0:1], v[18:19]
	v_fma_f64 v[2:3], v[0:1], v[6:7], -v[2:3]
	v_mul_f64 v[0:1], v[4:5], s[0:1]
	v_mul_f64 v[2:3], v[2:3], s[0:1]
	v_add_co_u32 v4, vcc_lo, v16, s3
	v_add_co_ci_u32_e32 v5, vcc_lo, s2, v17, vcc_lo
	v_add_co_u32 v6, vcc_lo, 0x5800, v20
	v_add_co_ci_u32_e32 v7, vcc_lo, 0, v21, vcc_lo
	;; [unrolled: 2-line block ×3, first 2 shown]
	global_store_dwordx4 v[4:5], v[0:3], off
	global_load_dwordx4 v[0:3], v[6:7], off offset:1808
	v_add_co_u32 v4, vcc_lo, 0x6000, v20
	v_add_co_ci_u32_e32 v5, vcc_lo, 0, v21, vcc_lo
	s_waitcnt vmcnt(0) lgkmcnt(0)
	v_mul_f64 v[6:7], v[10:11], v[2:3]
	v_mul_f64 v[2:3], v[8:9], v[2:3]
	v_fma_f64 v[6:7], v[8:9], v[0:1], v[6:7]
	v_fma_f64 v[2:3], v[0:1], v[10:11], -v[2:3]
	v_mul_f64 v[0:1], v[6:7], s[0:1]
	v_mul_f64 v[2:3], v[2:3], s[0:1]
	global_store_dwordx4 v[16:17], v[0:3], off
	global_load_dwordx4 v[0:3], v[4:5], off offset:1632
	ds_read_b128 v[4:7], v255 offset:26208
	ds_read_b128 v[8:11], v255 offset:28080
	s_waitcnt vmcnt(0) lgkmcnt(1)
	v_mul_f64 v[18:19], v[6:7], v[2:3]
	v_mul_f64 v[2:3], v[4:5], v[2:3]
	v_fma_f64 v[4:5], v[4:5], v[0:1], v[18:19]
	v_fma_f64 v[2:3], v[0:1], v[6:7], -v[2:3]
	v_mul_f64 v[0:1], v[4:5], s[0:1]
	v_mul_f64 v[2:3], v[2:3], s[0:1]
	v_add_co_u32 v4, vcc_lo, v16, s3
	v_add_co_ci_u32_e32 v5, vcc_lo, s2, v17, vcc_lo
	v_add_co_u32 v6, vcc_lo, 0x6800, v20
	v_add_co_ci_u32_e32 v7, vcc_lo, 0, v21, vcc_lo
	global_store_dwordx4 v[4:5], v[0:3], off
	global_load_dwordx4 v[0:3], v[6:7], off offset:1456
	v_add_co_u32 v4, vcc_lo, v4, s3
	v_add_co_ci_u32_e32 v5, vcc_lo, s2, v5, vcc_lo
	s_waitcnt vmcnt(0) lgkmcnt(0)
	v_mul_f64 v[6:7], v[10:11], v[2:3]
	v_mul_f64 v[2:3], v[8:9], v[2:3]
	v_fma_f64 v[6:7], v[8:9], v[0:1], v[6:7]
	v_fma_f64 v[2:3], v[0:1], v[10:11], -v[2:3]
	v_mul_f64 v[0:1], v[6:7], s[0:1]
	v_mul_f64 v[2:3], v[2:3], s[0:1]
	v_add_co_u32 v6, vcc_lo, 0x7000, v20
	v_add_co_ci_u32_e32 v7, vcc_lo, 0, v21, vcc_lo
	global_store_dwordx4 v[4:5], v[0:3], off
	global_load_dwordx4 v[0:3], v[6:7], off offset:1280
	v_add_co_u32 v4, vcc_lo, v4, s3
	v_add_co_ci_u32_e32 v5, vcc_lo, s2, v5, vcc_lo
	s_waitcnt vmcnt(0)
	v_mul_f64 v[6:7], v[14:15], v[2:3]
	v_mul_f64 v[2:3], v[12:13], v[2:3]
	v_fma_f64 v[6:7], v[12:13], v[0:1], v[6:7]
	v_fma_f64 v[2:3], v[0:1], v[14:15], -v[2:3]
	v_mul_f64 v[0:1], v[6:7], s[0:1]
	v_mul_f64 v[2:3], v[2:3], s[0:1]
	global_store_dwordx4 v[4:5], v[0:3], off
.LBB0_23:
	s_endpgm
	.section	.rodata,"a",@progbits
	.p2align	6, 0x0
	.amdhsa_kernel bluestein_single_fwd_len1989_dim1_dp_op_CI_CI
		.amdhsa_group_segment_fixed_size 31824
		.amdhsa_private_segment_fixed_size 584
		.amdhsa_kernarg_size 104
		.amdhsa_user_sgpr_count 6
		.amdhsa_user_sgpr_private_segment_buffer 1
		.amdhsa_user_sgpr_dispatch_ptr 0
		.amdhsa_user_sgpr_queue_ptr 0
		.amdhsa_user_sgpr_kernarg_segment_ptr 1
		.amdhsa_user_sgpr_dispatch_id 0
		.amdhsa_user_sgpr_flat_scratch_init 0
		.amdhsa_user_sgpr_private_segment_size 0
		.amdhsa_wavefront_size32 1
		.amdhsa_uses_dynamic_stack 0
		.amdhsa_system_sgpr_private_segment_wavefront_offset 1
		.amdhsa_system_sgpr_workgroup_id_x 1
		.amdhsa_system_sgpr_workgroup_id_y 0
		.amdhsa_system_sgpr_workgroup_id_z 0
		.amdhsa_system_sgpr_workgroup_info 0
		.amdhsa_system_vgpr_workitem_id 0
		.amdhsa_next_free_vgpr 256
		.amdhsa_next_free_sgpr 64
		.amdhsa_reserve_vcc 1
		.amdhsa_reserve_flat_scratch 0
		.amdhsa_float_round_mode_32 0
		.amdhsa_float_round_mode_16_64 0
		.amdhsa_float_denorm_mode_32 3
		.amdhsa_float_denorm_mode_16_64 3
		.amdhsa_dx10_clamp 1
		.amdhsa_ieee_mode 1
		.amdhsa_fp16_overflow 0
		.amdhsa_workgroup_processor_mode 1
		.amdhsa_memory_ordered 1
		.amdhsa_forward_progress 0
		.amdhsa_shared_vgpr_count 0
		.amdhsa_exception_fp_ieee_invalid_op 0
		.amdhsa_exception_fp_denorm_src 0
		.amdhsa_exception_fp_ieee_div_zero 0
		.amdhsa_exception_fp_ieee_overflow 0
		.amdhsa_exception_fp_ieee_underflow 0
		.amdhsa_exception_fp_ieee_inexact 0
		.amdhsa_exception_int_div_zero 0
	.end_amdhsa_kernel
	.text
.Lfunc_end0:
	.size	bluestein_single_fwd_len1989_dim1_dp_op_CI_CI, .Lfunc_end0-bluestein_single_fwd_len1989_dim1_dp_op_CI_CI
                                        ; -- End function
	.section	.AMDGPU.csdata,"",@progbits
; Kernel info:
; codeLenInByte = 36404
; NumSgprs: 66
; NumVgprs: 256
; ScratchSize: 584
; MemoryBound: 0
; FloatMode: 240
; IeeeMode: 1
; LDSByteSize: 31824 bytes/workgroup (compile time only)
; SGPRBlocks: 8
; VGPRBlocks: 31
; NumSGPRsForWavesPerEU: 66
; NumVGPRsForWavesPerEU: 256
; Occupancy: 4
; WaveLimiterHint : 1
; COMPUTE_PGM_RSRC2:SCRATCH_EN: 1
; COMPUTE_PGM_RSRC2:USER_SGPR: 6
; COMPUTE_PGM_RSRC2:TRAP_HANDLER: 0
; COMPUTE_PGM_RSRC2:TGID_X_EN: 1
; COMPUTE_PGM_RSRC2:TGID_Y_EN: 0
; COMPUTE_PGM_RSRC2:TGID_Z_EN: 0
; COMPUTE_PGM_RSRC2:TIDIG_COMP_CNT: 0
	.text
	.p2alignl 6, 3214868480
	.fill 48, 4, 3214868480
	.type	__hip_cuid_fb73ba9a104d36b8,@object ; @__hip_cuid_fb73ba9a104d36b8
	.section	.bss,"aw",@nobits
	.globl	__hip_cuid_fb73ba9a104d36b8
__hip_cuid_fb73ba9a104d36b8:
	.byte	0                               ; 0x0
	.size	__hip_cuid_fb73ba9a104d36b8, 1

	.ident	"AMD clang version 19.0.0git (https://github.com/RadeonOpenCompute/llvm-project roc-6.4.0 25133 c7fe45cf4b819c5991fe208aaa96edf142730f1d)"
	.section	".note.GNU-stack","",@progbits
	.addrsig
	.addrsig_sym __hip_cuid_fb73ba9a104d36b8
	.amdgpu_metadata
---
amdhsa.kernels:
  - .args:
      - .actual_access:  read_only
        .address_space:  global
        .offset:         0
        .size:           8
        .value_kind:     global_buffer
      - .actual_access:  read_only
        .address_space:  global
        .offset:         8
        .size:           8
        .value_kind:     global_buffer
      - .actual_access:  read_only
        .address_space:  global
        .offset:         16
        .size:           8
        .value_kind:     global_buffer
      - .actual_access:  read_only
        .address_space:  global
        .offset:         24
        .size:           8
        .value_kind:     global_buffer
      - .actual_access:  read_only
        .address_space:  global
        .offset:         32
        .size:           8
        .value_kind:     global_buffer
      - .offset:         40
        .size:           8
        .value_kind:     by_value
      - .address_space:  global
        .offset:         48
        .size:           8
        .value_kind:     global_buffer
      - .address_space:  global
        .offset:         56
        .size:           8
        .value_kind:     global_buffer
      - .address_space:  global
        .offset:         64
        .size:           8
        .value_kind:     global_buffer
      - .address_space:  global
        .offset:         72
        .size:           8
        .value_kind:     global_buffer
      - .offset:         80
        .size:           4
        .value_kind:     by_value
      - .address_space:  global
        .offset:         88
        .size:           8
        .value_kind:     global_buffer
      - .address_space:  global
        .offset:         96
        .size:           8
        .value_kind:     global_buffer
    .group_segment_fixed_size: 31824
    .kernarg_segment_align: 8
    .kernarg_segment_size: 104
    .language:       OpenCL C
    .language_version:
      - 2
      - 0
    .max_flat_workgroup_size: 153
    .name:           bluestein_single_fwd_len1989_dim1_dp_op_CI_CI
    .private_segment_fixed_size: 584
    .sgpr_count:     66
    .sgpr_spill_count: 0
    .symbol:         bluestein_single_fwd_len1989_dim1_dp_op_CI_CI.kd
    .uniform_work_group_size: 1
    .uses_dynamic_stack: false
    .vgpr_count:     256
    .vgpr_spill_count: 175
    .wavefront_size: 32
    .workgroup_processor_mode: 1
amdhsa.target:   amdgcn-amd-amdhsa--gfx1030
amdhsa.version:
  - 1
  - 2
...

	.end_amdgpu_metadata
